;; amdgpu-corpus repo=ROCm/rocFFT kind=compiled arch=gfx1030 opt=O3
	.text
	.amdgcn_target "amdgcn-amd-amdhsa--gfx1030"
	.amdhsa_code_object_version 6
	.protected	bluestein_single_fwd_len455_dim1_half_op_CI_CI ; -- Begin function bluestein_single_fwd_len455_dim1_half_op_CI_CI
	.globl	bluestein_single_fwd_len455_dim1_half_op_CI_CI
	.p2align	8
	.type	bluestein_single_fwd_len455_dim1_half_op_CI_CI,@function
bluestein_single_fwd_len455_dim1_half_op_CI_CI: ; @bluestein_single_fwd_len455_dim1_half_op_CI_CI
; %bb.0:
	s_load_dwordx4 s[0:3], s[4:5], 0x28
	v_mul_u32_u24_e32 v1, 0x3f1, v0
	v_lshrrev_b32_e32 v1, 16, v1
	v_mad_u64_u32 v[12:13], null, s6, 3, v[1:2]
	v_mov_b32_e32 v13, 0
	s_waitcnt lgkmcnt(0)
	v_cmp_gt_u64_e32 vcc_lo, s[0:1], v[12:13]
	s_and_saveexec_b32 s0, vcc_lo
	s_cbranch_execz .LBB0_23
; %bb.1:
	v_mul_hi_u32 v2, 0xaaaaaaab, v12
	s_clause 0x1
	s_load_dwordx2 s[20:21], s[4:5], 0x0
	s_load_dwordx2 s[8:9], s[4:5], 0x38
	v_mul_lo_u16 v1, 0x41, v1
	v_sub_nc_u16 v0, v0, v1
	v_lshrrev_b32_e32 v2, 1, v2
	v_and_b32_e32 v32, 0xffff, v0
	v_lshl_add_u32 v2, v2, 1, v2
	v_cmp_gt_u16_e32 vcc_lo, 35, v0
	v_lshlrev_b32_e32 v31, 2, v32
	v_sub_nc_u32_e32 v1, v12, v2
	v_mul_u32_u24_e32 v21, 0x1c7, v1
	v_lshlrev_b32_e32 v33, 2, v21
	s_and_saveexec_b32 s1, vcc_lo
	s_cbranch_execz .LBB0_3
; %bb.2:
	s_load_dwordx2 s[6:7], s[4:5], 0x18
	v_lshl_add_u32 v34, v32, 2, v33
	v_add_nc_u32_e32 v29, v33, v31
	v_add_nc_u32_e32 v37, 0x200, v29
	s_waitcnt lgkmcnt(0)
	s_load_dwordx4 s[12:15], s[6:7], 0x0
	s_waitcnt lgkmcnt(0)
	v_mad_u64_u32 v[0:1], null, s14, v12, 0
	v_mad_u64_u32 v[2:3], null, s12, v32, 0
	s_mul_i32 s6, s13, 0x8c
	s_mul_hi_u32 s7, s12, 0x8c
	s_add_i32 s7, s7, s6
	v_mad_u64_u32 v[4:5], null, s15, v12, v[1:2]
	v_mad_u64_u32 v[5:6], null, s13, v32, v[3:4]
	v_mov_b32_e32 v1, v4
	v_lshlrev_b64 v[0:1], 2, v[0:1]
	v_mov_b32_e32 v3, v5
	v_add_co_u32 v0, s0, s2, v0
	v_lshlrev_b64 v[2:3], 2, v[2:3]
	v_add_co_ci_u32_e64 v1, s0, s3, v1, s0
	s_mul_i32 s2, s12, 0x8c
	v_add_co_u32 v0, s0, v0, v2
	v_add_co_ci_u32_e64 v1, s0, v1, v3, s0
	v_add_co_u32 v2, s0, v0, s2
	v_add_co_ci_u32_e64 v3, s0, s7, v1, s0
	global_load_dword v4, v[0:1], off
	v_add_co_u32 v0, s0, v2, s2
	v_add_co_ci_u32_e64 v1, s0, s7, v3, s0
	s_clause 0x1
	global_load_dword v5, v31, s[20:21]
	global_load_dword v6, v31, s[20:21] offset:140
	s_clause 0x1
	global_load_dword v7, v[2:3], off
	global_load_dword v8, v[0:1], off
	v_add_co_u32 v0, s0, v0, s2
	v_add_co_ci_u32_e64 v1, s0, s7, v1, s0
	s_clause 0x2
	global_load_dword v9, v31, s[20:21] offset:280
	global_load_dword v10, v31, s[20:21] offset:420
	;; [unrolled: 1-line block ×3, first 2 shown]
	v_add_co_u32 v2, s0, v0, s2
	v_add_co_ci_u32_e64 v3, s0, s7, v1, s0
	s_clause 0x1
	global_load_dword v13, v[0:1], off
	global_load_dword v14, v[2:3], off
	v_add_co_u32 v0, s0, v2, s2
	v_add_co_ci_u32_e64 v1, s0, s7, v3, s0
	v_add_co_u32 v2, s0, v0, s2
	v_add_co_ci_u32_e64 v3, s0, s7, v1, s0
	s_clause 0x2
	global_load_dword v15, v31, s[20:21] offset:700
	global_load_dword v16, v31, s[20:21] offset:840
	;; [unrolled: 1-line block ×3, first 2 shown]
	global_load_dword v18, v[0:1], off
	global_load_dword v19, v[2:3], off
	v_add_co_u32 v0, s0, v2, s2
	v_add_co_ci_u32_e64 v1, s0, s7, v3, s0
	s_clause 0x1
	global_load_dword v20, v31, s[20:21] offset:1120
	global_load_dword v22, v31, s[20:21] offset:1260
	v_add_co_u32 v2, s0, v0, s2
	v_add_co_ci_u32_e64 v3, s0, s7, v1, s0
	global_load_dword v23, v[0:1], off
	v_add_co_u32 v0, s0, v2, s2
	v_add_co_ci_u32_e64 v1, s0, s7, v3, s0
	global_load_dword v24, v[2:3], off
	;; [unrolled: 3-line block ×4, first 2 shown]
	v_add_co_u32 v2, s0, v0, s2
	v_add_co_ci_u32_e64 v3, s0, s7, v1, s0
	global_load_dword v27, v31, s[20:21] offset:1400
	global_load_dword v0, v[0:1], off
	global_load_dword v1, v[2:3], off
	s_clause 0x1
	global_load_dword v2, v31, s[20:21] offset:1540
	global_load_dword v3, v31, s[20:21] offset:1680
	s_waitcnt vmcnt(25)
	v_lshrrev_b32_e32 v28, 16, v4
	s_waitcnt vmcnt(24)
	v_mul_f16_sdwa v30, v5, v4 dst_sel:DWORD dst_unused:UNUSED_PAD src0_sel:WORD_1 src1_sel:DWORD
	s_waitcnt vmcnt(22)
	v_lshrrev_b32_e32 v36, 16, v7
	v_mul_f16_sdwa v35, v5, v28 dst_sel:DWORD dst_unused:UNUSED_PAD src0_sel:WORD_1 src1_sel:DWORD
	v_fma_f16 v28, v5, v28, -v30
	v_mul_f16_sdwa v30, v6, v7 dst_sel:DWORD dst_unused:UNUSED_PAD src0_sel:WORD_1 src1_sel:DWORD
	s_waitcnt vmcnt(20)
	v_mul_f16_sdwa v38, v9, v8 dst_sel:DWORD dst_unused:UNUSED_PAD src0_sel:WORD_1 src1_sel:DWORD
	v_fmac_f16_e32 v35, v5, v4
	v_mul_f16_sdwa v4, v6, v36 dst_sel:DWORD dst_unused:UNUSED_PAD src0_sel:WORD_1 src1_sel:DWORD
	v_lshrrev_b32_e32 v5, 16, v8
	v_fma_f16 v30, v6, v36, -v30
	v_pack_b32_f16 v28, v35, v28
	v_fmac_f16_e32 v4, v6, v7
	v_mul_f16_sdwa v6, v9, v5 dst_sel:DWORD dst_unused:UNUSED_PAD src0_sel:WORD_1 src1_sel:DWORD
	s_waitcnt vmcnt(17)
	v_lshrrev_b32_e32 v7, 16, v13
	v_fma_f16 v5, v9, v5, -v38
	v_mul_f16_sdwa v35, v10, v13 dst_sel:DWORD dst_unused:UNUSED_PAD src0_sel:WORD_1 src1_sel:DWORD
	ds_write_b32 v34, v28
	v_fmac_f16_e32 v6, v9, v8
	v_mul_f16_sdwa v8, v10, v7 dst_sel:DWORD dst_unused:UNUSED_PAD src0_sel:WORD_1 src1_sel:DWORD
	s_waitcnt vmcnt(16)
	v_lshrrev_b32_e32 v9, 16, v14
	v_pack_b32_f16 v4, v4, v30
	v_mul_f16_sdwa v28, v11, v14 dst_sel:DWORD dst_unused:UNUSED_PAD src0_sel:WORD_1 src1_sel:DWORD
	v_fma_f16 v7, v10, v7, -v35
	v_pack_b32_f16 v5, v6, v5
	v_fmac_f16_e32 v8, v10, v13
	v_mul_f16_sdwa v6, v11, v9 dst_sel:DWORD dst_unused:UNUSED_PAD src0_sel:WORD_1 src1_sel:DWORD
	s_waitcnt vmcnt(12)
	v_lshrrev_b32_e32 v10, 16, v18
	v_fma_f16 v9, v11, v9, -v28
	v_mul_f16_sdwa v13, v15, v18 dst_sel:DWORD dst_unused:UNUSED_PAD src0_sel:WORD_1 src1_sel:DWORD
	ds_write2_b32 v29, v4, v5 offset0:35 offset1:70
	v_pack_b32_f16 v4, v8, v7
	v_fmac_f16_e32 v6, v11, v14
	s_waitcnt vmcnt(11)
	v_lshrrev_b32_e32 v7, 16, v19
	v_mul_f16_sdwa v5, v15, v10 dst_sel:DWORD dst_unused:UNUSED_PAD src0_sel:WORD_1 src1_sel:DWORD
	v_fma_f16 v8, v15, v10, -v13
	v_mul_f16_sdwa v10, v16, v19 dst_sel:DWORD dst_unused:UNUSED_PAD src0_sel:WORD_1 src1_sel:DWORD
	v_pack_b32_f16 v6, v6, v9
	v_mul_f16_sdwa v9, v16, v7 dst_sel:DWORD dst_unused:UNUSED_PAD src0_sel:WORD_1 src1_sel:DWORD
	v_fmac_f16_e32 v5, v15, v18
	s_waitcnt vmcnt(8)
	v_lshrrev_b32_e32 v11, 16, v23
	v_fma_f16 v7, v16, v7, -v10
	v_mul_f16_sdwa v10, v17, v23 dst_sel:DWORD dst_unused:UNUSED_PAD src0_sel:WORD_1 src1_sel:DWORD
	v_fmac_f16_e32 v9, v16, v19
	s_waitcnt vmcnt(7)
	v_lshrrev_b32_e32 v13, 16, v24
	v_pack_b32_f16 v5, v5, v8
	v_mul_f16_sdwa v8, v17, v11 dst_sel:DWORD dst_unused:UNUSED_PAD src0_sel:WORD_1 src1_sel:DWORD
	v_fma_f16 v10, v17, v11, -v10
	v_mul_f16_sdwa v11, v20, v24 dst_sel:DWORD dst_unused:UNUSED_PAD src0_sel:WORD_1 src1_sel:DWORD
	v_pack_b32_f16 v7, v9, v7
	v_mul_f16_sdwa v9, v20, v13 dst_sel:DWORD dst_unused:UNUSED_PAD src0_sel:WORD_1 src1_sel:DWORD
	v_fmac_f16_e32 v8, v17, v23
	s_waitcnt vmcnt(6)
	v_lshrrev_b32_e32 v14, 16, v25
	v_mul_f16_sdwa v15, v22, v25 dst_sel:DWORD dst_unused:UNUSED_PAD src0_sel:WORD_1 src1_sel:DWORD
	v_fma_f16 v11, v20, v13, -v11
	v_fmac_f16_e32 v9, v20, v24
	v_pack_b32_f16 v8, v8, v10
	v_mul_f16_sdwa v10, v22, v14 dst_sel:DWORD dst_unused:UNUSED_PAD src0_sel:WORD_1 src1_sel:DWORD
	v_fma_f16 v13, v22, v14, -v15
	s_waitcnt vmcnt(5)
	v_lshrrev_b32_e32 v14, 16, v26
	s_waitcnt vmcnt(4)
	v_mul_f16_sdwa v15, v27, v26 dst_sel:DWORD dst_unused:UNUSED_PAD src0_sel:WORD_1 src1_sel:DWORD
	v_pack_b32_f16 v9, v9, v11
	s_waitcnt vmcnt(3)
	v_lshrrev_b32_e32 v11, 16, v0
	s_waitcnt vmcnt(2)
	v_lshrrev_b32_e32 v16, 16, v1
	v_mul_f16_sdwa v17, v27, v14 dst_sel:DWORD dst_unused:UNUSED_PAD src0_sel:WORD_1 src1_sel:DWORD
	v_fma_f16 v14, v27, v14, -v15
	s_waitcnt vmcnt(1)
	v_mul_f16_sdwa v15, v2, v0 dst_sel:DWORD dst_unused:UNUSED_PAD src0_sel:WORD_1 src1_sel:DWORD
	v_mul_f16_sdwa v18, v2, v11 dst_sel:DWORD dst_unused:UNUSED_PAD src0_sel:WORD_1 src1_sel:DWORD
	s_waitcnt vmcnt(0)
	v_mul_f16_sdwa v19, v3, v16 dst_sel:DWORD dst_unused:UNUSED_PAD src0_sel:WORD_1 src1_sel:DWORD
	v_mul_f16_sdwa v20, v3, v1 dst_sel:DWORD dst_unused:UNUSED_PAD src0_sel:WORD_1 src1_sel:DWORD
	v_fmac_f16_e32 v10, v22, v25
	v_fmac_f16_e32 v17, v27, v26
	v_fma_f16 v11, v2, v11, -v15
	v_fmac_f16_e32 v18, v2, v0
	v_fmac_f16_e32 v19, v3, v1
	v_fma_f16 v0, v3, v16, -v20
	v_pack_b32_f16 v1, v10, v13
	v_pack_b32_f16 v2, v17, v14
	v_add_nc_u32_e32 v3, 0x400, v29
	v_pack_b32_f16 v10, v18, v11
	v_pack_b32_f16 v0, v19, v0
	ds_write2_b32 v29, v4, v6 offset0:105 offset1:140
	ds_write2_b32 v29, v5, v7 offset0:175 offset1:210
	;; [unrolled: 1-line block ×5, first 2 shown]
.LBB0_3:
	s_or_b32 exec_lo, exec_lo, s1
	v_mov_b32_e32 v0, 0
	s_waitcnt lgkmcnt(0)
	s_barrier
	buffer_gl0_inv
                                        ; implicit-def: $vgpr7
                                        ; implicit-def: $vgpr4
                                        ; implicit-def: $vgpr9
                                        ; implicit-def: $vgpr2
                                        ; implicit-def: $vgpr11
                                        ; implicit-def: $vgpr15
	s_and_saveexec_b32 s0, vcc_lo
	s_cbranch_execz .LBB0_5
; %bb.4:
	v_lshl_add_u32 v13, v21, 2, v31
	v_add_nc_u32_e32 v2, 0x400, v13
	ds_read2_b32 v[0:1], v13 offset1:35
	ds_read2_b32 v[10:11], v13 offset0:70 offset1:105
	ds_read2_b32 v[8:9], v13 offset0:140 offset1:175
	;; [unrolled: 1-line block ×5, first 2 shown]
	ds_read_b32 v15, v13 offset:1680
.LBB0_5:
	s_or_b32 exec_lo, exec_lo, s0
	s_waitcnt lgkmcnt(0)
	v_pk_add_f16 v20, v1, v15 neg_lo:[0,1] neg_hi:[0,1]
	v_mov_b32_e32 v13, 0xb770
	v_mov_b32_e32 v27, 0xba95
	v_pk_add_f16 v37, v15, v1
	v_pk_add_f16 v39, v10, v3 neg_lo:[0,1] neg_hi:[0,1]
	v_mov_b32_e32 v16, 0xbb7b
	v_mul_f16_sdwa v18, v20, v13 dst_sel:DWORD dst_unused:UNUSED_PAD src0_sel:WORD_1 src1_sel:DWORD
	v_mul_f16_sdwa v23, v20, v27 dst_sel:DWORD dst_unused:UNUSED_PAD src0_sel:WORD_1 src1_sel:DWORD
	v_mov_b32_e32 v40, 0xbbf1
	v_pk_add_f16 v43, v3, v10
	v_mul_f16_sdwa v22, v39, v27 dst_sel:DWORD dst_unused:UNUSED_PAD src0_sel:WORD_1 src1_sel:DWORD
	v_fmamk_f16 v13, v37, 0x3b15, v18
	v_fmamk_f16 v14, v37, 0x388b, v23
	v_mul_f16_sdwa v28, v39, v16 dst_sel:DWORD dst_unused:UNUSED_PAD src0_sel:WORD_1 src1_sel:DWORD
	v_pk_add_f16 v48, v11, v2 neg_lo:[0,1] neg_hi:[0,1]
	v_mov_b32_e32 v51, 0xb3a8
	v_fmamk_f16 v42, v43, 0x388b, v22
	v_mov_b32_e32 v52, 0x394e
	v_fmamk_f16 v44, v43, 0xb5ac, v28
	v_pk_add_f16 v53, v8, v5 neg_lo:[0,1] neg_hi:[0,1]
	v_pk_add_f16 v49, v2, v11
	v_mul_f16_sdwa v26, v48, v40 dst_sel:DWORD dst_unused:UNUSED_PAD src0_sel:WORD_1 src1_sel:DWORD
	v_mul_f16_sdwa v29, v48, v51 dst_sel:DWORD dst_unused:UNUSED_PAD src0_sel:WORD_1 src1_sel:DWORD
	v_add_f16_e32 v13, v13, v0
	v_add_f16_e32 v14, v14, v0
	v_mov_b32_e32 v17, 0xb94e
	v_pk_add_f16 v47, v5, v8
	v_mul_f16_sdwa v24, v53, v16 dst_sel:DWORD dst_unused:UNUSED_PAD src0_sel:WORD_1 src1_sel:DWORD
	v_mov_b32_e32 v57, 0x3bf1
	v_fmamk_f16 v45, v49, 0x2fb7, v26
	v_fmamk_f16 v54, v49, 0xbbc4, v29
	v_pk_add_f16 v76, v9, v4 neg_lo:[0,1] neg_hi:[0,1]
	v_mul_f16_sdwa v30, v53, v52 dst_sel:DWORD dst_unused:UNUSED_PAD src0_sel:WORD_1 src1_sel:DWORD
	v_add_f16_e32 v13, v42, v13
	v_add_f16_e32 v14, v44, v14
	v_mov_b32_e32 v71, 0x3770
	v_fmamk_f16 v56, v47, 0xb5ac, v24
	v_pk_add_f16 v50, v4, v9
	v_mul_f16_sdwa v35, v76, v17 dst_sel:DWORD dst_unused:UNUSED_PAD src0_sel:WORD_1 src1_sel:DWORD
	v_fmamk_f16 v58, v47, 0xb9fd, v30
	v_mul_f16_sdwa v38, v76, v57 dst_sel:DWORD dst_unused:UNUSED_PAD src0_sel:WORD_1 src1_sel:DWORD
	v_pk_add_f16 v98, v6, v7 neg_lo:[0,1] neg_hi:[0,1]
	v_add_f16_e32 v13, v45, v13
	v_add_f16_e32 v14, v54, v14
	v_lshrrev_b32_e32 v46, 16, v37
	v_mul_f16_e32 v19, 0xb770, v20
	v_fmamk_f16 v44, v50, 0xb9fd, v35
	v_fmamk_f16 v59, v50, 0x2fb7, v38
	v_pk_add_f16 v55, v7, v6
	v_mul_f16_sdwa v42, v98, v51 dst_sel:DWORD dst_unused:UNUSED_PAD src0_sel:WORD_1 src1_sel:DWORD
	v_mul_f16_sdwa v45, v98, v71 dst_sel:DWORD dst_unused:UNUSED_PAD src0_sel:WORD_1 src1_sel:DWORD
	v_add_f16_e32 v13, v56, v13
	v_add_f16_e32 v14, v58, v14
	v_mul_f16_e32 v25, 0xba95, v20
	v_fma_f16 v36, v46, 0x3b15, -v19
	v_mul_f16_sdwa v34, v20, v40 dst_sel:DWORD dst_unused:UNUSED_PAD src0_sel:WORD_1 src1_sel:DWORD
	v_lshrrev_b32_e32 v60, 16, v43
	v_fmamk_f16 v58, v55, 0xbbc4, v42
	v_fmamk_f16 v61, v55, 0x3b15, v45
	v_add_f16_e32 v13, v44, v13
	v_add_f16_e32 v44, v59, v14
	v_mul_f16_e32 v54, 0xba95, v39
	v_fma_f16 v41, v46, 0x388b, -v25
	v_fmamk_f16 v59, v37, 0x2fb7, v34
	v_mul_f16_e32 v56, 0xbb7b, v39
	v_add_f16_e32 v14, v58, v13
	v_add_f16_e32 v13, v61, v44
	v_fma_f16 v44, v60, 0x388b, -v54
	v_add_f16_sdwa v36, v36, v0 dst_sel:DWORD dst_unused:UNUSED_PAD src0_sel:DWORD src1_sel:WORD_1
	v_mul_f16_sdwa v58, v39, v51 dst_sel:DWORD dst_unused:UNUSED_PAD src0_sel:WORD_1 src1_sel:DWORD
	v_mul_f16_e32 v61, 0xbbf1, v20
	v_fma_f16 v51, v60, 0xb5ac, -v56
	v_add_f16_sdwa v41, v41, v0 dst_sel:DWORD dst_unused:UNUSED_PAD src0_sel:DWORD src1_sel:WORD_1
	v_add_f16_e32 v36, v44, v36
	v_fmamk_f16 v44, v43, 0xbbc4, v58
	v_add_f16_e32 v59, v59, v0
	v_fma_f16 v63, v46, 0x2fb7, -v61
	v_mul_f16_sdwa v66, v20, v16 dst_sel:DWORD dst_unused:UNUSED_PAD src0_sel:WORD_1 src1_sel:DWORD
	v_add_f16_e32 v41, v51, v41
	v_mul_f16_e32 v65, 0xb94e, v20
	v_add_f16_e32 v44, v44, v59
	v_add_f16_sdwa v51, v63, v0 dst_sel:DWORD dst_unused:UNUSED_PAD src0_sel:DWORD src1_sel:WORD_1
	v_fmamk_f16 v59, v37, 0xb5ac, v66
	v_mul_f16_sdwa v63, v20, v17 dst_sel:DWORD dst_unused:UNUSED_PAD src0_sel:WORD_1 src1_sel:DWORD
	v_mul_f16_e32 v62, 0xb3a8, v39
	v_mul_f16_sdwa v68, v39, v52 dst_sel:DWORD dst_unused:UNUSED_PAD src0_sel:WORD_1 src1_sel:DWORD
	v_mul_f16_sdwa v57, v39, v57 dst_sel:DWORD dst_unused:UNUSED_PAD src0_sel:WORD_1 src1_sel:DWORD
	v_add_f16_e32 v52, v59, v0
	v_fma_f16 v59, v37, 0xb9fd, -v63
	v_fmamk_f16 v67, v46, 0xb9fd, v65
	v_mul_f16_e32 v69, 0x3bf1, v39
	v_fmac_f16_e32 v63, 0xb9fd, v37
	v_fma_f16 v64, v60, 0xbbc4, -v62
	v_add_f16_e32 v59, v59, v0
	v_fma_f16 v72, v43, 0x2fb7, -v57
	v_add_f16_sdwa v67, v67, v0 dst_sel:DWORD dst_unused:UNUSED_PAD src0_sel:DWORD src1_sel:WORD_1
	v_fmamk_f16 v73, v60, 0x2fb7, v69
	v_fma_f16 v65, v46, 0xb9fd, -v65
	v_fmac_f16_e32 v57, 0x2fb7, v43
	v_add_f16_e32 v63, v63, v0
	v_add_f16_e32 v51, v64, v51
	v_add_f16_e32 v59, v72, v59
	v_add_f16_e32 v64, v73, v67
	v_pk_mul_f16 v75, 0xb3a8bb7b, v20
	v_fma_f16 v67, v60, 0x2fb7, -v69
	v_add_f16_sdwa v65, v65, v0 dst_sel:DWORD dst_unused:UNUSED_PAD src0_sel:DWORD src1_sel:WORD_1
	v_add_f16_e32 v72, v57, v63
	v_mul_f16_e32 v20, 0xb3a8, v20
	v_lshrrev_b32_e32 v74, 16, v49
	v_mul_f16_e32 v57, 0xbbf1, v48
	v_mul_f16_e32 v63, 0xb3a8, v48
	v_fmamk_f16 v70, v43, 0xb9fd, v68
	v_pk_fma_f16 v69, 0xb5acbbc4, v37, v75 op_sel:[0,0,1] op_sel_hi:[1,1,0] neg_lo:[0,0,1] neg_hi:[0,0,1]
	v_pk_mul_f16 v73, 0x3770394e, v39
	v_add_f16_e32 v77, v67, v65
	v_mul_f16_e32 v84, 0x3770, v39
	v_fma_f16 v39, v46, 0xbbc4, -v20
	v_mov_b32_e32 v65, 0x3b7b
	v_fma_f16 v78, v74, 0x2fb7, -v57
	v_fma_f16 v79, v74, 0xbbc4, -v63
	v_add_f16_e32 v52, v70, v52
	v_pk_add_f16 v67, v69, v0
	v_pk_fma_f16 v69, 0xb9fd3b15, v43, v73 op_sel:[0,0,1] op_sel_hi:[1,1,0] neg_lo:[0,0,1] neg_hi:[0,0,1]
	v_add_f16_sdwa v39, v39, v0 dst_sel:DWORD dst_unused:UNUSED_PAD src0_sel:DWORD src1_sel:WORD_1
	v_fma_f16 v70, v60, 0x3b15, -v84
	v_mul_f16_sdwa v65, v48, v65 dst_sel:DWORD dst_unused:UNUSED_PAD src0_sel:WORD_1 src1_sel:DWORD
	v_add_f16_e32 v36, v78, v36
	v_add_f16_e32 v41, v79, v41
	v_mul_f16_sdwa v79, v48, v71 dst_sel:DWORD dst_unused:UNUSED_PAD src0_sel:WORD_1 src1_sel:DWORD
	v_mul_f16_sdwa v78, v48, v27 dst_sel:DWORD dst_unused:UNUSED_PAD src0_sel:WORD_1 src1_sel:DWORD
	v_pk_add_f16 v69, v69, v67
	v_add_f16_e32 v39, v70, v39
	v_fmamk_f16 v67, v49, 0xb5ac, v65
	v_mul_f16_e32 v70, 0x3b7b, v48
	v_mul_f16_e32 v80, 0xba95, v48
	v_fmamk_f16 v81, v49, 0x3b15, v79
	v_fma_f16 v82, v49, 0x388b, -v78
	v_add_f16_e32 v44, v67, v44
	v_fma_f16 v67, v74, 0xb5ac, -v70
	v_fmamk_f16 v83, v74, 0x388b, v80
	v_fmac_f16_e32 v78, 0x388b, v49
	v_add_f16_e32 v52, v81, v52
	v_add_f16_e32 v81, v82, v59
	v_pk_mul_f16 v82, 0xb94e3770, v48
	v_add_f16_e32 v51, v67, v51
	v_add_f16_e32 v64, v83, v64
	;; [unrolled: 1-line block ×3, first 2 shown]
	v_fma_f16 v72, v74, 0x388b, -v80
	v_mul_f16_e32 v48, 0xb94e, v48
	v_lshrrev_b32_e32 v80, 16, v47
	v_pk_fma_f16 v83, 0x3b15b9fd, v49, v82 op_sel:[0,0,1] op_sel_hi:[1,1,0] neg_lo:[0,0,1] neg_hi:[0,0,1]
	v_mul_f16_e32 v67, 0x394e, v53
	v_mul_f16_e32 v59, 0xbb7b, v53
	v_add_f16_e32 v88, v72, v77
	v_fma_f16 v77, v74, 0xb9fd, -v48
	v_pk_add_f16 v83, v83, v69
	v_fma_f16 v69, v80, 0xb9fd, -v67
	v_mul_f16_sdwa v72, v53, v71 dst_sel:DWORD dst_unused:UNUSED_PAD src0_sel:WORD_1 src1_sel:DWORD
	v_mov_b32_e32 v89, 0x33a8
	v_fma_f16 v85, v80, 0xb5ac, -v59
	v_add_f16_e32 v39, v77, v39
	v_add_f16_e32 v41, v69, v41
	v_fmamk_f16 v69, v47, 0x3b15, v72
	v_mul_f16_e32 v77, 0x3770, v53
	v_mul_f16_sdwa v86, v53, v40 dst_sel:DWORD dst_unused:UNUSED_PAD src0_sel:WORD_1 src1_sel:DWORD
	v_mul_f16_sdwa v40, v53, v89 dst_sel:DWORD dst_unused:UNUSED_PAD src0_sel:WORD_1 src1_sel:DWORD
	v_add_f16_e32 v36, v85, v36
	v_mul_f16_e32 v90, 0x33a8, v53
	v_add_f16_e32 v44, v69, v44
	v_fma_f16 v69, v80, 0x3b15, -v77
	v_fmamk_f16 v85, v47, 0x2fb7, v86
	v_fma_f16 v87, v47, 0xbbc4, -v40
	v_fmac_f16_e32 v40, 0xbbc4, v47
	v_fmamk_f16 v91, v80, 0xbbc4, v90
	v_add_f16_e32 v51, v69, v51
	v_add_f16_e32 v52, v85, v52
	;; [unrolled: 1-line block ×4, first 2 shown]
	v_pk_mul_f16 v87, 0x3a95bbf1, v53
	v_lshrrev_b32_e32 v85, 16, v50
	v_fma_f16 v78, v80, 0xbbc4, -v90
	v_mul_f16_e32 v69, 0x3bf1, v76
	v_mul_f16_e32 v53, 0x3a95, v53
	v_pk_fma_f16 v81, 0x2fb7388b, v47, v87 op_sel:[0,0,1] op_sel_hi:[1,1,0] neg_lo:[0,0,1] neg_hi:[0,0,1]
	v_add_f16_e32 v93, v91, v64
	v_add_f16_e32 v78, v78, v88
	v_fma_f16 v88, v85, 0x2fb7, -v69
	v_mul_f16_e32 v64, 0xb94e, v76
	v_fma_f16 v90, v80, 0x388b, -v53
	v_pk_add_f16 v94, v81, v83
	v_mul_f16_sdwa v81, v76, v27 dst_sel:DWORD dst_unused:UNUSED_PAD src0_sel:WORD_1 src1_sel:DWORD
	v_mul_f16_e32 v83, 0xba95, v76
	v_add_f16_e32 v27, v88, v41
	v_mul_f16_sdwa v41, v76, v71 dst_sel:DWORD dst_unused:UNUSED_PAD src0_sel:WORD_1 src1_sel:DWORD
	v_fma_f16 v91, v85, 0xb9fd, -v64
	v_add_f16_e32 v39, v90, v39
	v_mul_f16_sdwa v89, v76, v89 dst_sel:DWORD dst_unused:UNUSED_PAD src0_sel:WORD_1 src1_sel:DWORD
	v_fmamk_f16 v71, v50, 0x388b, v81
	v_fma_f16 v88, v85, 0x388b, -v83
	v_mul_f16_e32 v90, 0x3770, v76
	v_fma_f16 v95, v50, 0x3b15, -v41
	v_add_f16_e32 v36, v91, v36
	v_fmamk_f16 v91, v50, 0xbbc4, v89
	v_add_f16_e32 v99, v71, v44
	v_add_f16_e32 v44, v88, v51
	v_fmamk_f16 v51, v85, 0x3b15, v90
	v_add_f16_e32 v100, v95, v92
	v_mul_f16_e32 v92, 0xbb7b, v76
	v_add_f16_e32 v52, v91, v52
	v_pk_mul_f16 v91, 0xbb7b33a8, v76
	v_add_f16_e32 v51, v51, v93
	v_fma_f16 v76, v85, 0x3b15, -v90
	v_fma_f16 v93, v85, 0xb5ac, -v92
	v_lshrrev_b32_e32 v88, 16, v55
	v_mul_f16_e32 v71, 0xb3a8, v98
	v_fmac_f16_e32 v41, 0x3b15, v50
	v_pk_fma_f16 v90, 0xbbc4b5ac, v50, v91 op_sel:[0,0,1] op_sel_hi:[1,1,0] neg_lo:[0,0,1] neg_hi:[0,0,1]
	v_add_f16_e32 v102, v76, v78
	v_add_f16_e32 v104, v93, v39
	v_fma_f16 v39, v88, 0xbbc4, -v71
	v_mul_f16_e32 v78, 0x3770, v98
	v_add_f16_e32 v101, v41, v40
	v_pk_add_f16 v103, v90, v94
	v_pk_fma_f16 v40, 0xb5acbbc4, v37, v75 op_sel:[0,0,1] op_sel_hi:[1,1,0]
	v_mul_f16_e32 v41, 0x3b15, v60
	v_fmamk_f16 v20, v46, 0xbbc4, v20
	v_pk_mul_f16 v94, 0xb9fd3b15, v43
	v_add_f16_e32 v39, v39, v36
	v_fma_f16 v36, v88, 0x3b15, -v78
	v_pack_b32_f16 v76, v84, v40
	v_perm_b32 v41, v0, v41, 0x5040100
	v_pack_b32_f16 v20, v20, v94
	v_mul_f16_e32 v90, 0xb94e, v98
	v_perm_b32 v84, v73, v0, 0x7060302
	v_add_f16_e32 v40, v36, v27
	v_mov_b32_e32 v36, 0x3a95
	v_pk_add_f16 v27, v76, v41
	v_fma_f16 v41, v88, 0xb9fd, -v90
	v_pk_add_f16 v20, v20, v84
	v_pk_mul_f16 v97, 0x3b15b9fd, v49
	v_mul_f16_e32 v84, 0xb9fd, v74
	v_mul_f16_sdwa v76, v98, v36 dst_sel:DWORD dst_unused:UNUSED_PAD src0_sel:WORD_1 src1_sel:DWORD
	v_add_f16_e32 v41, v41, v44
	v_pk_add_f16 v20, v20, v27
	v_pack_b32_f16 v27, v48, v97
	v_bfi_b32 v36, 0xffff, v84, v82
	v_fmamk_f16 v44, v55, 0x388b, v76
	v_pk_mul_f16 v96, 0x2fb7388b, v47
	v_mul_f16_e32 v48, 0x388b, v80
	v_mul_f16_e32 v84, 0xbb7b, v98
	v_pk_add_f16 v27, v27, v36
	v_add_f16_e32 v44, v44, v52
	v_pack_b32_f16 v36, v53, v96
	v_bfi_b32 v48, 0xffff, v48, v87
	v_fmamk_f16 v52, v88, 0xb5ac, v84
	v_pk_mul_f16 v95, 0xbbc4b5ac, v50
	v_mul_f16_e32 v53, 0xb5ac, v85
	v_pk_add_f16 v20, v27, v20
	v_pk_add_f16 v36, v36, v48
	v_add_f16_e32 v27, v52, v51
	v_pack_b32_f16 v48, v92, v95
	v_bfi_b32 v51, 0xffff, v53, v91
	v_fma_f16 v52, v88, 0xb5ac, -v84
	v_pk_mul_f16 v93, 0x3bf13a95, v98
	v_mul_f16_e32 v53, 0x3bf1, v98
	v_mul_f16_e32 v92, 0x2fb7, v88
	v_pk_mul_f16 v84, 0x388b2fb7, v55
	v_pk_add_f16 v20, v36, v20
	v_pk_add_f16 v36, v48, v51
	s_clause 0x1
	s_load_dwordx2 s[6:7], s[4:5], 0x20
	s_load_dwordx2 s[2:3], s[4:5], 0x8
	v_add_f16_e32 v48, v52, v102
	v_bfi_b32 v51, 0xffff, v92, v93
	v_pack_b32_f16 v52, v53, v84
	v_pk_fma_f16 v102, 0x388b2fb7, v55, v93 op_sel:[0,0,1] op_sel_hi:[1,1,0] neg_lo:[0,0,1] neg_hi:[0,0,1]
	v_pk_add_f16 v20, v36, v20
	v_mul_f16_sdwa v92, v98, v17 dst_sel:DWORD dst_unused:UNUSED_PAD src0_sel:WORD_1 src1_sel:DWORD
	v_mul_f16_sdwa v36, v98, v16 dst_sel:DWORD dst_unused:UNUSED_PAD src0_sel:WORD_1 src1_sel:DWORD
	v_pk_add_f16 v16, v52, v51
	v_pk_add_f16 v51, v102, v103
	v_fma_f16 v17, v88, 0x2fb7, -v53
	v_fmamk_f16 v98, v55, 0xb9fd, v92
	v_fma_f16 v102, v55, 0xb5ac, -v36
	v_fmac_f16_e32 v36, 0xb5ac, v55
	v_pk_add_f16 v53, v16, v20
	v_add_f16_e32 v52, v17, v104
	v_add_f16_e32 v16, v98, v99
	;; [unrolled: 1-line block ×4, first 2 shown]
	v_mul_lo_u16 v36, v32, 13
	s_waitcnt lgkmcnt(0)
	s_barrier
	buffer_gl0_inv
	s_and_saveexec_b32 s0, vcc_lo
	s_cbranch_execz .LBB0_7
; %bb.6:
	v_mul_f16_e32 v98, 0x3b15, v37
	v_mul_f16_e32 v100, 0x388b, v37
	;; [unrolled: 1-line block ×4, first 2 shown]
	v_pk_mul_f16 v37, 0xb5acbbc4, v37
	v_pk_add_f16 v1, v1, v0
	v_alignbit_b32 v75, v75, v75, 16
	v_mul_f16_e32 v99, 0x3b15, v46
	v_mul_f16_e32 v101, 0x388b, v46
	v_bfi_b32 v66, 0xffff, v66, v37
	v_pk_add_f16 v1, v10, v1
	v_mul_f16_e32 v46, 0x2fb7, v46
	v_mul_f16_e32 v104, 0x388b, v43
	v_mul_f16_e32 v106, 0xb5ac, v43
	v_mul_f16_e32 v108, 0xbbc4, v43
	v_mul_f16_e32 v43, 0xb9fd, v43
	v_bfi_b32 v68, 0xffff, v68, v94
	v_alignbit_b32 v73, v73, v73, 16
	v_pk_add_f16 v66, v103, v66 neg_lo:[0,1] neg_hi:[0,1]
	v_pk_add_f16 v37, v75, v37
	v_sub_f16_e32 v23, v100, v23
	v_pk_add_f16 v1, v11, v1
	v_mul_f16_e32 v105, 0x388b, v60
	v_mul_f16_e32 v107, 0xb5ac, v60
	;; [unrolled: 1-line block ×3, first 2 shown]
	v_pk_add_f16 v43, v43, v68 neg_lo:[0,1] neg_hi:[0,1]
	v_pk_add_f16 v73, v73, v94
	v_alignbit_b32 v82, v82, v82, 16
	v_add_f16_e32 v46, v61, v46
	v_bfi_b32 v37, 0xffff, v66, v37
	v_mul_f16_e32 v66, 0xbbc4, v49
	v_add_f16_e32 v23, v23, v0
	v_sub_f16_e32 v28, v106, v28
	v_pk_add_f16 v1, v8, v1
	v_mul_f16_e32 v103, 0x2fb7, v74
	v_bfi_b32 v79, 0xffff, v79, v97
	v_mul_f16_e32 v94, 0xbbc4, v74
	v_mul_f16_e32 v74, 0xb5ac, v74
	v_pk_add_f16 v82, v82, v97
	v_mul_f16_e32 v97, 0x2fb7, v47
	v_bfi_b32 v43, 0xffff, v43, v73
	v_bfi_b32 v73, 0xffff, v86, v96
	v_alignbit_b32 v87, v87, v87, 16
	v_add_f16_e32 v60, v62, v60
	v_add_f16_sdwa v46, v46, v0 dst_sel:DWORD dst_unused:UNUSED_PAD src0_sel:DWORD src1_sel:WORD_1
	v_add_f16_e32 v23, v28, v23
	v_sub_f16_e32 v28, v66, v29
	v_add_f16_e32 v19, v19, v99
	v_pk_add_f16 v1, v9, v1
	v_mul_f16_e32 v86, 0xb5ac, v80
	v_pk_add_f16 v73, v97, v73 neg_lo:[0,1] neg_hi:[0,1]
	v_mul_f16_e32 v97, 0xb9fd, v80
	v_pk_add_f16 v87, v87, v96
	v_mul_f16_e32 v96, 0xbbc4, v50
	v_bfi_b32 v89, 0xffff, v89, v95
	v_mul_f16_e32 v80, 0x3b15, v80
	v_add_f16_e32 v46, v60, v46
	v_add_f16_e32 v70, v70, v74
	v_sub_f16_e32 v34, v102, v34
	v_add_f16_e32 v23, v28, v23
	v_add_f16_sdwa v19, v19, v0 dst_sel:DWORD dst_unused:UNUSED_PAD src0_sel:DWORD src1_sel:WORD_1
	v_add_f16_e32 v28, v54, v105
	v_sub_f16_e32 v8, v98, v18
	v_pk_add_f16 v1, v6, v1
	v_mul_f16_e32 v75, 0x2fb7, v49
	v_mul_f16_e32 v68, 0x3b15, v49
	;; [unrolled: 1-line block ×3, first 2 shown]
	v_pk_add_f16 v89, v96, v89 neg_lo:[0,1] neg_hi:[0,1]
	v_mul_f16_e32 v96, 0xb9fd, v85
	v_mul_f16_e32 v62, 0x2fb7, v85
	;; [unrolled: 1-line block ×3, first 2 shown]
	v_sub_f16_e32 v58, v108, v58
	v_add_f16_e32 v34, v34, v0
	v_add_f16_e32 v46, v70, v46
	;; [unrolled: 1-line block ×7, first 2 shown]
	v_sub_f16_e32 v9, v104, v22
	v_pk_add_f16 v1, v7, v1
	v_pk_add_f16 v68, v68, v79 neg_lo:[0,1] neg_hi:[0,1]
	v_mul_f16_e32 v60, 0xbbc4, v88
	v_mul_f16_e32 v102, 0x3b15, v88
	;; [unrolled: 1-line block ×3, first 2 shown]
	v_add_f16_e32 v34, v58, v34
	v_sub_f16_e32 v49, v49, v65
	v_add_f16_e32 v46, v70, v46
	v_add_f16_e32 v58, v83, v85
	v_add_f16_sdwa v25, v25, v0 dst_sel:DWORD dst_unused:UNUSED_PAD src0_sel:DWORD src1_sel:WORD_1
	v_add_f16_e32 v56, v56, v107
	v_mul_f16_e32 v79, 0xb5ac, v47
	v_add_f16_e32 v18, v19, v18
	v_add_f16_e32 v6, v59, v86
	;; [unrolled: 1-line block ×3, first 2 shown]
	v_sub_f16_e32 v9, v75, v26
	v_pk_add_f16 v1, v4, v1
	v_bfi_b32 v68, 0xffff, v68, v82
	v_mul_f16_e32 v82, 0xb9fd, v47
	v_mul_f16_e32 v47, 0x3b15, v47
	v_add_f16_e32 v34, v49, v34
	v_add_f16_e32 v46, v58, v46
	;; [unrolled: 1-line block ×5, first 2 shown]
	v_bfi_b32 v73, 0xffff, v73, v87
	v_mul_f16_e32 v87, 0xb9fd, v50
	v_alignbit_b32 v91, v91, v91, 16
	v_add_f16_e32 v6, v6, v18
	v_add_f16_e32 v7, v64, v96
	;; [unrolled: 1-line block ×3, first 2 shown]
	v_sub_f16_e32 v9, v79, v24
	v_pk_add_f16 v1, v5, v1
	v_pk_add_f16 v0, v37, v0
	v_mul_f16_e32 v61, 0x2fb7, v50
	v_mul_f16_e32 v50, 0x388b, v50
	v_sub_f16_e32 v47, v47, v72
	v_add_f16_e32 v46, v49, v46
	v_add_f16_e32 v25, v56, v25
	;; [unrolled: 1-line block ×3, first 2 shown]
	v_sub_f16_e32 v11, v82, v30
	v_pk_add_f16 v91, v91, v95
	v_mul_f16_e32 v95, 0xbbc4, v55
	v_add_f16_e32 v6, v7, v6
	v_add_f16_e32 v7, v71, v60
	;; [unrolled: 1-line block ×3, first 2 shown]
	v_sub_f16_e32 v5, v87, v35
	v_pk_add_f16 v1, v2, v1
	v_pk_add_f16 v0, v43, v0
	v_mul_f16_e32 v74, 0x3b15, v55
	v_mul_f16_e32 v108, 0xb9fd, v55
	v_add_f16_e32 v34, v47, v34
	v_sub_f16_e32 v47, v50, v81
	v_add_f16_e32 v25, v49, v25
	v_add_f16_e32 v49, v69, v62
	v_add_f16_e32 v11, v11, v23
	v_sub_f16_e32 v22, v61, v38
	v_mul_f16_e32 v55, 0x388b, v55
	v_alignbit_b32 v93, v93, v93, 16
	v_add_f16_e32 v6, v7, v6
	v_add_f16_e32 v2, v5, v8
	v_sub_f16_e32 v5, v95, v42
	v_and_b32_e32 v7, 0xffff, v36
	v_pk_add_f16 v1, v3, v1
	v_pk_add_f16 v0, v68, v0
	v_bfi_b32 v3, 0xffff, v76, v84
	v_add_f16_e32 v34, v47, v34
	v_sub_f16_e32 v47, v108, v92
	v_add_f16_e32 v10, v49, v25
	v_add_f16_e32 v25, v78, v102
	;; [unrolled: 1-line block ×3, first 2 shown]
	v_sub_f16_e32 v4, v74, v45
	v_bfi_b32 v77, 0xffff, v89, v91
	v_add_f16_e32 v2, v5, v2
	v_add_lshl_u32 v5, v21, v7, 2
	v_pk_add_f16 v0, v73, v0
	v_pk_add_f16 v3, v55, v3 neg_lo:[0,1] neg_hi:[0,1]
	v_pk_add_f16 v7, v93, v84
	v_add_f16_e32 v34, v47, v34
	v_add_f16_e32 v10, v25, v10
	;; [unrolled: 1-line block ×3, first 2 shown]
	v_pk_add_f16 v1, v15, v1
	v_pack_b32_f16 v2, v2, v6
	v_pk_add_f16 v0, v77, v0
	v_bfi_b32 v3, 0xffff, v3, v7
	v_pack_b32_f16 v6, v34, v46
	v_pack_b32_f16 v4, v4, v10
	ds_write2_b32 v5, v1, v2 offset1:1
	ds_write2_b32 v5, v4, v6 offset0:2 offset1:3
	v_pk_add_f16 v0, v3, v0
	v_perm_b32 v1, v27, v17, 0x5040100
	v_perm_b32 v2, v53, v51, 0x5040100
	v_alignbit_b32 v3, v52, v53, 16
	v_bfi_b32 v4, 0xffff, v44, v51
	v_perm_b32 v6, v48, v20, 0x5040100
	v_perm_b32 v7, v40, v13, 0x5040100
	;; [unrolled: 1-line block ×4, first 2 shown]
	ds_write2_b32 v5, v0, v1 offset0:4 offset1:5
	ds_write2_b32 v5, v2, v3 offset0:6 offset1:7
	;; [unrolled: 1-line block ×4, first 2 shown]
	ds_write_b32 v5, v9 offset:48
.LBB0_7:
	s_or_b32 exec_lo, exec_lo, s0
	v_add_lshl_u32 v35, v21, v32, 2
	s_waitcnt lgkmcnt(0)
	s_barrier
	buffer_gl0_inv
	v_cmp_gt_u16_e64 s0, 26, v32
	v_add_nc_u32_e32 v0, 0x200, v35
	v_lshrrev_b32_e32 v19, 16, v53
	ds_read2_b32 v[8:9], v35 offset1:91
	ds_read2_b32 v[10:11], v0 offset0:54 offset1:145
	ds_read_b32 v15, v35 offset:1456
	s_and_saveexec_b32 s1, s0
	s_cbranch_execz .LBB0_9
; %bb.8:
	ds_read2_b32 v[17:18], v35 offset0:65 offset1:156
	ds_read2_b32 v[19:20], v0 offset0:119 offset1:210
	ds_read_b32 v44, v35 offset:1716
	s_waitcnt lgkmcnt(2)
	v_lshrrev_b32_e32 v27, 16, v17
	v_lshrrev_b32_e32 v53, 16, v18
	s_waitcnt lgkmcnt(1)
	v_lshrrev_b32_e32 v52, 16, v19
	v_lshrrev_b32_e32 v48, 16, v20
	s_waitcnt lgkmcnt(0)
	v_bfi_b32 v51, 0xffff, v18, v44
.LBB0_9:
	s_or_b32 exec_lo, exec_lo, s1
	v_and_b32_e32 v0, 0xff, v32
	v_mov_b32_e32 v3, 4
	v_mov_b32_e32 v18, 0x41
	s_waitcnt lgkmcnt(2)
	v_lshrrev_b32_e32 v24, 16, v9
	s_waitcnt lgkmcnt(1)
	v_lshrrev_b32_e32 v25, 16, v11
	v_mul_lo_u16 v0, 0x4f, v0
	s_waitcnt lgkmcnt(0)
	v_lshrrev_b32_e32 v26, 16, v15
	v_lshrrev_b32_e32 v28, 16, v51
	;; [unrolled: 1-line block ×3, first 2 shown]
	s_load_dwordx4 s[4:7], s[6:7], 0x0
	v_lshrrev_b16 v22, 10, v0
	v_add_nc_u16 v0, v32, 0x41
	v_mul_lo_u16 v1, v22, 13
	v_and_b32_e32 v2, 0xff, v0
	v_mul_u32_u24_sdwa v22, v22, v18 dst_sel:DWORD dst_unused:UNUSED_PAD src0_sel:WORD_0 src1_sel:DWORD
	v_sub_nc_u16 v23, v32, v1
	v_mul_lo_u16 v1, 0x4f, v2
	v_lshlrev_b32_sdwa v2, v3, v23 dst_sel:DWORD dst_unused:UNUSED_PAD src0_sel:DWORD src1_sel:BYTE_0
	v_lshrrev_b16 v38, 10, v1
	v_add_nc_u32_sdwa v22, v22, v23 dst_sel:DWORD dst_unused:UNUSED_PAD src0_sel:DWORD src1_sel:BYTE_0
	v_lshrrev_b32_e32 v23, 16, v10
	global_load_dwordx4 v[4:7], v2, s[2:3]
	v_mul_lo_u16 v1, v38, 13
	v_add_lshl_u32 v42, v21, v22, 2
	v_sub_nc_u16 v37, v0, v1
	v_lshlrev_b32_sdwa v0, v3, v37 dst_sel:DWORD dst_unused:UNUSED_PAD src0_sel:DWORD src1_sel:BYTE_0
	global_load_dwordx4 v[0:3], v0, s[2:3]
	s_waitcnt vmcnt(0) lgkmcnt(0)
	s_barrier
	buffer_gl0_inv
	v_mul_f16_sdwa v22, v24, v4 dst_sel:DWORD dst_unused:UNUSED_PAD src0_sel:DWORD src1_sel:WORD_1
	v_mul_f16_sdwa v29, v9, v4 dst_sel:DWORD dst_unused:UNUSED_PAD src0_sel:DWORD src1_sel:WORD_1
	;; [unrolled: 1-line block ×8, first 2 shown]
	v_fma_f16 v47, v9, v4, -v22
	v_fmac_f16_e32 v29, v24, v4
	v_fma_f16 v30, v10, v5, -v30
	v_fmac_f16_e32 v34, v23, v5
	;; [unrolled: 2-line block ×4, first 2 shown]
	v_mul_f16_sdwa v11, v53, v0 dst_sel:DWORD dst_unused:UNUSED_PAD src0_sel:DWORD src1_sel:WORD_1
	v_mul_f16_sdwa v25, v51, v0 dst_sel:DWORD dst_unused:UNUSED_PAD src0_sel:DWORD src1_sel:WORD_1
	v_mul_f16_sdwa v23, v52, v1 dst_sel:DWORD dst_unused:UNUSED_PAD src0_sel:DWORD src1_sel:WORD_1
	v_mul_f16_sdwa v22, v19, v1 dst_sel:DWORD dst_unused:UNUSED_PAD src0_sel:DWORD src1_sel:WORD_1
	v_mul_f16_sdwa v46, v48, v2 dst_sel:DWORD dst_unused:UNUSED_PAD src0_sel:DWORD src1_sel:WORD_1
	v_mul_f16_sdwa v10, v20, v2 dst_sel:DWORD dst_unused:UNUSED_PAD src0_sel:DWORD src1_sel:WORD_1
	v_mul_f16_sdwa v49, v28, v3 dst_sel:DWORD dst_unused:UNUSED_PAD src0_sel:DWORD src1_sel:WORD_1
	v_mul_f16_sdwa v9, v44, v3 dst_sel:DWORD dst_unused:UNUSED_PAD src0_sel:DWORD src1_sel:WORD_1
	v_fma_f16 v26, v51, v0, -v11
	v_fmac_f16_e32 v25, v53, v0
	v_fma_f16 v24, v19, v1, -v23
	v_fmac_f16_e32 v22, v52, v1
	;; [unrolled: 2-line block ×4, first 2 shown]
	v_add_f16_e32 v19, v8, v47
	v_add_f16_e32 v20, v30, v43
	v_sub_f16_e32 v28, v47, v30
	v_sub_f16_e32 v44, v15, v43
	v_add_f16_e32 v46, v47, v15
	v_sub_f16_e32 v48, v30, v47
	v_sub_f16_e32 v49, v43, v15
	v_add_f16_e32 v53, v50, v29
	v_add_f16_e32 v55, v34, v45
	v_sub_f16_e32 v56, v47, v15
	v_sub_f16_e32 v47, v29, v34
	;; [unrolled: 1-line block ×3, first 2 shown]
	v_add_f16_e32 v59, v29, v54
	v_sub_f16_e32 v51, v29, v54
	v_sub_f16_e32 v52, v34, v45
	;; [unrolled: 1-line block ×4, first 2 shown]
	v_add_f16_e32 v19, v19, v30
	v_fma_f16 v61, -0.5, v20, v8
	v_add_f16_e32 v62, v28, v44
	v_fmac_f16_e32 v8, -0.5, v46
	v_add_f16_e32 v63, v48, v49
	v_add_f16_e32 v20, v53, v34
	v_fma_f16 v53, -0.5, v55, v50
	v_add_f16_e32 v55, v47, v58
	v_add_f16_e32 v34, v24, v23
	v_sub_f16_e32 v44, v26, v24
	v_sub_f16_e32 v47, v11, v23
	v_add_f16_e32 v48, v26, v11
	v_add_f16_e32 v64, v22, v10
	;; [unrolled: 1-line block ×3, first 2 shown]
	v_sub_f16_e32 v57, v30, v43
	v_fmac_f16_e32 v50, -0.5, v59
	v_add_f16_e32 v58, v29, v60
	v_sub_f16_e32 v29, v25, v9
	v_sub_f16_e32 v30, v22, v10
	;; [unrolled: 1-line block ×4, first 2 shown]
	v_add_f16_e32 v19, v19, v43
	v_fmamk_f16 v70, v51, 0x3b9c, v61
	v_fmamk_f16 v71, v52, 0xbb9c, v8
	v_fmac_f16_e32 v8, 0x3b9c, v52
	v_add_f16_e32 v43, v20, v45
	v_fmamk_f16 v72, v56, 0xbb9c, v53
	v_fma_f16 v34, -0.5, v34, v17
	v_add_f16_e32 v49, v44, v47
	v_fma_f16 v20, -0.5, v48, v17
	v_fma_f16 v48, -0.5, v64, v27
	;; [unrolled: 1-line block ×3, first 2 shown]
	v_fmamk_f16 v73, v57, 0x3b9c, v50
	v_fmac_f16_e32 v50, 0xbb9c, v57
	v_fmac_f16_e32 v61, 0xbb9c, v51
	;; [unrolled: 1-line block ×3, first 2 shown]
	v_sub_f16_e32 v59, v24, v26
	v_sub_f16_e32 v60, v23, v11
	;; [unrolled: 1-line block ×6, first 2 shown]
	v_add_f16_e32 v64, v19, v15
	v_fmac_f16_e32 v70, 0x38b4, v52
	v_fmac_f16_e32 v71, 0x38b4, v51
	;; [unrolled: 1-line block ×3, first 2 shown]
	v_add_f16_e32 v51, v43, v54
	v_fmac_f16_e32 v72, 0xb8b4, v57
	v_fmamk_f16 v15, v29, 0xbb9c, v34
	v_fmamk_f16 v19, v30, 0xbb9c, v20
	v_fmac_f16_e32 v20, 0x3b9c, v30
	v_fmamk_f16 v43, v46, 0x3b9c, v48
	v_fmamk_f16 v45, v28, 0x3b9c, v44
	v_fmac_f16_e32 v44, 0xbb9c, v28
	v_fmac_f16_e32 v73, 0xb8b4, v56
	;; [unrolled: 1-line block ×5, first 2 shown]
	v_add_f16_e32 v59, v59, v60
	v_add_f16_e32 v47, v65, v66
	;; [unrolled: 1-line block ×3, first 2 shown]
	v_fmac_f16_e32 v70, 0x34f2, v62
	v_fmac_f16_e32 v72, 0x34f2, v55
	;; [unrolled: 1-line block ×14, first 2 shown]
	v_pack_b32_f16 v51, v64, v51
	v_fmac_f16_e32 v15, 0x34f2, v49
	v_fmac_f16_e32 v19, 0x34f2, v59
	v_fmac_f16_e32 v20, 0x34f2, v59
	v_fmac_f16_e32 v43, 0x34f2, v47
	v_fmac_f16_e32 v45, 0x34f2, v60
	v_pack_b32_f16 v52, v70, v72
	v_fmac_f16_e32 v44, 0x34f2, v60
	v_pack_b32_f16 v54, v71, v73
	v_pack_b32_f16 v8, v8, v50
	;; [unrolled: 1-line block ×3, first 2 shown]
	ds_write2_b32 v42, v51, v52 offset1:13
	ds_write2_b32 v42, v54, v8 offset0:26 offset1:39
	ds_write_b32 v42, v50 offset:208
	s_and_saveexec_b32 s1, s0
	s_cbranch_execz .LBB0_11
; %bb.10:
	v_mul_f16_e32 v8, 0x3b9c, v29
	v_mul_f16_e32 v29, 0x38b4, v30
	;; [unrolled: 1-line block ×3, first 2 shown]
	v_add_f16_e32 v25, v27, v25
	v_add_f16_e32 v17, v17, v26
	v_mul_f16_e32 v26, 0x38b4, v28
	v_add_f16_e32 v8, v34, v8
	v_sub_f16_e32 v28, v48, v30
	v_add_f16_e32 v22, v25, v22
	v_add_f16_e32 v17, v17, v24
	v_mul_f16_e32 v27, 0x34f2, v49
	v_mul_f16_e32 v25, 0x34f2, v47
	v_sub_f16_e32 v24, v28, v26
	v_add_f16_e32 v10, v22, v10
	v_mul_u32_u24_sdwa v18, v38, v18 dst_sel:DWORD dst_unused:UNUSED_PAD src0_sel:WORD_0 src1_sel:DWORD
	v_add_f16_e32 v17, v17, v23
	v_add_f16_e32 v8, v29, v8
	;; [unrolled: 1-line block ×4, first 2 shown]
	v_add_nc_u32_sdwa v10, v18, v37 dst_sel:DWORD dst_unused:UNUSED_PAD src0_sel:DWORD src1_sel:BYTE_0
	v_add_f16_e32 v11, v17, v11
	v_add_f16_e32 v8, v27, v8
	v_perm_b32 v17, v44, v20, 0x5040100
	v_perm_b32 v18, v43, v15, 0x5040100
	v_add_lshl_u32 v10, v21, v10, 2
	v_pack_b32_f16 v9, v11, v9
	v_pack_b32_f16 v8, v8, v22
	v_perm_b32 v11, v45, v19, 0x5040100
	ds_write2_b32 v10, v9, v8 offset1:13
	ds_write2_b32 v10, v11, v17 offset0:26 offset1:39
	ds_write_b32 v10, v18 offset:208
.LBB0_11:
	s_or_b32 exec_lo, exec_lo, s1
	v_mad_u64_u32 v[17:18], null, v32, 24, s[2:3]
	s_waitcnt lgkmcnt(0)
	s_barrier
	buffer_gl0_inv
	v_add_nc_u32_e32 v23, 0x200, v35
	v_add_nc_u32_e32 v25, 0x400, v35
	v_lshl_add_u32 v34, v32, 2, v33
	s_clause 0x1
	global_load_dwordx4 v[8:11], v[17:18], off offset:208
	global_load_dwordx2 v[17:18], v[17:18], off offset:224
	ds_read2_b32 v[21:22], v35 offset0:65 offset1:130
	ds_read2_b32 v[23:24], v23 offset0:67 offset1:132
	;; [unrolled: 1-line block ×3, first 2 shown]
	ds_read_b32 v29, v35
	v_add_nc_u32_e32 v27, 0x200, v34
	v_add_nc_u32_e32 v28, 0x400, v34
	s_waitcnt lgkmcnt(3)
	v_lshrrev_b32_e32 v30, 16, v21
	v_lshrrev_b32_e32 v46, 16, v22
	s_waitcnt lgkmcnt(1)
	v_lshrrev_b32_e32 v49, 16, v25
	v_lshrrev_b32_e32 v50, 16, v26
	;; [unrolled: 1-line block ×4, first 2 shown]
	s_waitcnt vmcnt(1)
	v_mul_f16_sdwa v51, v30, v8 dst_sel:DWORD dst_unused:UNUSED_PAD src0_sel:DWORD src1_sel:WORD_1
	v_mul_f16_sdwa v52, v21, v8 dst_sel:DWORD dst_unused:UNUSED_PAD src0_sel:DWORD src1_sel:WORD_1
	;; [unrolled: 1-line block ×4, first 2 shown]
	s_waitcnt vmcnt(0)
	v_mul_f16_sdwa v59, v49, v17 dst_sel:DWORD dst_unused:UNUSED_PAD src0_sel:DWORD src1_sel:WORD_1
	v_mul_f16_sdwa v60, v25, v17 dst_sel:DWORD dst_unused:UNUSED_PAD src0_sel:DWORD src1_sel:WORD_1
	;; [unrolled: 1-line block ×8, first 2 shown]
	v_fma_f16 v21, v21, v8, -v51
	v_fmac_f16_e32 v52, v30, v8
	v_fma_f16 v22, v22, v9, -v53
	v_fmac_f16_e32 v54, v46, v9
	;; [unrolled: 2-line block ×6, first 2 shown]
	v_add_f16_e32 v30, v21, v26
	v_add_f16_e32 v46, v52, v62
	;; [unrolled: 1-line block ×4, first 2 shown]
	v_sub_f16_e32 v21, v21, v26
	v_sub_f16_e32 v26, v52, v62
	;; [unrolled: 1-line block ×4, first 2 shown]
	v_add_f16_e32 v49, v23, v24
	v_add_f16_e32 v50, v56, v58
	v_sub_f16_e32 v23, v24, v23
	v_sub_f16_e32 v24, v58, v56
	v_add_f16_e32 v51, v47, v30
	v_add_f16_e32 v52, v48, v46
	v_sub_f16_e32 v53, v47, v30
	v_sub_f16_e32 v54, v48, v46
	;; [unrolled: 1-line block ×6, first 2 shown]
	v_add_f16_e32 v47, v23, v22
	v_add_f16_e32 v56, v24, v25
	v_sub_f16_e32 v57, v23, v22
	v_sub_f16_e32 v58, v24, v25
	v_sub_f16_e32 v22, v22, v21
	v_sub_f16_e32 v25, v25, v26
	v_add_f16_e32 v49, v49, v51
	v_add_f16_e32 v50, v50, v52
	v_sub_f16_e32 v23, v21, v23
	v_sub_f16_e32 v24, v26, v24
	v_add_f16_e32 v21, v47, v21
	v_add_f16_e32 v26, v56, v26
	v_mul_f16_e32 v30, 0x3a52, v30
	v_mul_f16_e32 v51, 0x3a52, v46
	;; [unrolled: 1-line block ×7, first 2 shown]
	s_waitcnt lgkmcnt(0)
	v_add_f16_e32 v46, v29, v49
	v_add_f16_sdwa v47, v29, v50 dst_sel:DWORD dst_unused:UNUSED_PAD src0_sel:WORD_1 src1_sel:DWORD
	v_mul_f16_e32 v52, 0x2b26, v55
	v_fmamk_f16 v29, v55, 0x2b26, v30
	v_fmamk_f16 v48, v48, 0x2b26, v51
	v_fma_f16 v55, v54, 0x39e0, -v56
	v_fma_f16 v30, v53, 0xb9e0, -v30
	;; [unrolled: 1-line block ×3, first 2 shown]
	v_fmamk_f16 v54, v23, 0x3574, v57
	v_fmamk_f16 v56, v24, 0x3574, v58
	v_fma_f16 v57, v22, 0x3b00, -v57
	v_fma_f16 v25, v25, 0x3b00, -v58
	;; [unrolled: 1-line block ×4, first 2 shown]
	v_fmamk_f16 v22, v49, 0xbcab, v46
	v_fmamk_f16 v23, v50, 0xbcab, v47
	v_fma_f16 v52, v53, 0x39e0, -v52
	v_fmac_f16_e32 v54, 0x370e, v21
	v_fmac_f16_e32 v56, 0x370e, v26
	;; [unrolled: 1-line block ×5, first 2 shown]
	v_add_f16_e32 v26, v29, v22
	v_add_f16_e32 v29, v48, v23
	;; [unrolled: 1-line block ×4, first 2 shown]
	v_fmac_f16_e32 v57, 0x370e, v21
	v_add_f16_e32 v24, v52, v22
	v_add_f16_e32 v49, v55, v23
	;; [unrolled: 1-line block ×3, first 2 shown]
	v_sub_f16_e32 v53, v29, v54
	v_add_f16_e32 v22, v59, v30
	v_sub_f16_e32 v52, v48, v58
	v_sub_f16_e32 v23, v24, v25
	v_add_f16_e32 v51, v57, v49
	v_add_f16_e32 v24, v25, v24
	v_sub_f16_e32 v50, v49, v57
	v_sub_f16_e32 v25, v30, v59
	v_add_f16_e32 v49, v58, v48
	v_sub_f16_e32 v26, v26, v56
	v_add_f16_e32 v48, v54, v29
	v_pack_b32_f16 v60, v46, v47
	v_pack_b32_f16 v29, v21, v53
	;; [unrolled: 1-line block ×7, first 2 shown]
	ds_write_b32 v34, v60
	ds_write2_b32 v34, v29, v30 offset0:65 offset1:130
	ds_write2_b32 v27, v54, v55 offset0:67 offset1:132
	;; [unrolled: 1-line block ×3, first 2 shown]
	s_waitcnt lgkmcnt(0)
	s_barrier
	buffer_gl0_inv
	s_and_saveexec_b32 s1, vcc_lo
	s_cbranch_execz .LBB0_13
; %bb.12:
	global_load_dword v29, v31, s[20:21] offset:1820
	s_add_u32 s2, s20, 0x71c
	s_addc_u32 s3, s21, 0
	s_clause 0xb
	global_load_dword v64, v31, s[2:3] offset:140
	global_load_dword v65, v31, s[2:3] offset:280
	;; [unrolled: 1-line block ×12, first 2 shown]
	ds_read_b32 v30, v34
	s_waitcnt lgkmcnt(0)
	v_lshrrev_b32_e32 v54, 16, v30
	s_waitcnt vmcnt(12)
	v_mul_f16_sdwa v55, v54, v29 dst_sel:DWORD dst_unused:UNUSED_PAD src0_sel:DWORD src1_sel:WORD_1
	v_mul_f16_sdwa v56, v30, v29 dst_sel:DWORD dst_unused:UNUSED_PAD src0_sel:DWORD src1_sel:WORD_1
	v_fma_f16 v30, v30, v29, -v55
	v_fmac_f16_e32 v56, v54, v29
	v_pack_b32_f16 v29, v30, v56
	ds_write_b32 v34, v29
	ds_read2_b32 v[29:30], v34 offset0:35 offset1:70
	ds_read2_b32 v[54:55], v34 offset0:105 offset1:140
	;; [unrolled: 1-line block ×6, first 2 shown]
	s_waitcnt lgkmcnt(5)
	v_lshrrev_b32_e32 v76, 16, v29
	s_waitcnt vmcnt(11)
	v_mul_f16_sdwa v77, v29, v64 dst_sel:DWORD dst_unused:UNUSED_PAD src0_sel:DWORD src1_sel:WORD_1
	v_lshrrev_b32_e32 v78, 16, v30
	s_waitcnt vmcnt(10)
	v_mul_f16_sdwa v79, v30, v65 dst_sel:DWORD dst_unused:UNUSED_PAD src0_sel:DWORD src1_sel:WORD_1
	s_waitcnt lgkmcnt(4)
	v_lshrrev_b32_e32 v80, 16, v54
	s_waitcnt vmcnt(9)
	v_mul_f16_sdwa v81, v54, v66 dst_sel:DWORD dst_unused:UNUSED_PAD src0_sel:DWORD src1_sel:WORD_1
	v_lshrrev_b32_e32 v82, 16, v55
	s_waitcnt vmcnt(8)
	v_mul_f16_sdwa v83, v55, v67 dst_sel:DWORD dst_unused:UNUSED_PAD src0_sel:DWORD src1_sel:WORD_1
	;; [unrolled: 7-line block ×5, first 2 shown]
	s_waitcnt lgkmcnt(0)
	v_lshrrev_b32_e32 v96, 16, v62
	s_waitcnt vmcnt(1)
	v_mul_f16_sdwa v97, v62, v74 dst_sel:DWORD dst_unused:UNUSED_PAD src0_sel:DWORD src1_sel:WORD_1
	v_lshrrev_b32_e32 v98, 16, v63
	v_mul_f16_sdwa v100, v76, v64 dst_sel:DWORD dst_unused:UNUSED_PAD src0_sel:DWORD src1_sel:WORD_1
	v_fmac_f16_e32 v77, v76, v64
	v_mul_f16_sdwa v76, v78, v65 dst_sel:DWORD dst_unused:UNUSED_PAD src0_sel:DWORD src1_sel:WORD_1
	v_fmac_f16_e32 v79, v78, v65
	;; [unrolled: 2-line block ×9, first 2 shown]
	v_mul_f16_sdwa v92, v94, v73 dst_sel:DWORD dst_unused:UNUSED_PAD src0_sel:DWORD src1_sel:WORD_1
	s_waitcnt vmcnt(0)
	v_mul_f16_sdwa v99, v63, v75 dst_sel:DWORD dst_unused:UNUSED_PAD src0_sel:DWORD src1_sel:WORD_1
	v_fmac_f16_e32 v95, v94, v73
	v_mul_f16_sdwa v94, v96, v74 dst_sel:DWORD dst_unused:UNUSED_PAD src0_sel:DWORD src1_sel:WORD_1
	v_fmac_f16_e32 v97, v96, v74
	v_mul_f16_sdwa v96, v98, v75 dst_sel:DWORD dst_unused:UNUSED_PAD src0_sel:DWORD src1_sel:WORD_1
	v_fma_f16 v29, v29, v64, -v100
	v_fma_f16 v30, v30, v65, -v76
	v_fma_f16 v54, v54, v66, -v78
	v_fma_f16 v55, v55, v67, -v80
	v_fma_f16 v56, v56, v68, -v82
	v_fma_f16 v57, v57, v69, -v84
	v_fma_f16 v58, v58, v70, -v86
	v_fma_f16 v59, v59, v71, -v88
	v_fma_f16 v60, v60, v72, -v90
	v_fma_f16 v61, v61, v73, -v92
	v_fmac_f16_e32 v99, v98, v75
	v_fma_f16 v62, v62, v74, -v94
	v_fma_f16 v63, v63, v75, -v96
	v_pack_b32_f16 v29, v29, v77
	v_pack_b32_f16 v30, v30, v79
	;; [unrolled: 1-line block ×12, first 2 shown]
	ds_write2_b32 v34, v29, v30 offset0:35 offset1:70
	ds_write2_b32 v34, v54, v55 offset0:105 offset1:140
	;; [unrolled: 1-line block ×6, first 2 shown]
.LBB0_13:
	s_or_b32 exec_lo, exec_lo, s1
	s_waitcnt lgkmcnt(0)
	s_barrier
	buffer_gl0_inv
	s_and_saveexec_b32 s1, vcc_lo
	s_cbranch_execz .LBB0_15
; %bb.14:
	v_add_nc_u32_e32 v13, 0x200, v34
	v_add_nc_u32_e32 v14, 0x400, v34
	ds_read_b32 v46, v34
	ds_read2_b32 v[21:22], v34 offset0:35 offset1:70
	ds_read2_b32 v[23:24], v34 offset0:105 offset1:140
	;; [unrolled: 1-line block ×6, first 2 shown]
	s_waitcnt lgkmcnt(6)
	v_lshrrev_b32_e32 v47, 16, v46
	s_waitcnt lgkmcnt(5)
	v_lshrrev_b32_e32 v53, 16, v21
	v_lshrrev_b32_e32 v52, 16, v22
	s_waitcnt lgkmcnt(4)
	v_lshrrev_b32_e32 v51, 16, v23
	;; [unrolled: 3-line block ×6, first 2 shown]
	v_lshrrev_b32_e32 v39, 16, v14
.LBB0_15:
	s_or_b32 exec_lo, exec_lo, s1
	v_sub_f16_e32 v68, v53, v39
	v_add_f16_e32 v72, v39, v53
	v_add_f16_e32 v60, v14, v21
	v_sub_f16_e32 v71, v52, v40
	v_sub_f16_e32 v61, v21, v14
	v_mul_f16_e32 v81, 0xbb7b, v68
	v_mul_f16_e32 v84, 0xb5ac, v72
	v_mul_f16_e32 v27, 0xb94e, v68
	v_add_f16_e32 v76, v40, v52
	v_add_f16_e32 v62, v13, v22
	v_fma_f16 v29, v60, 0xb5ac, -v81
	v_mul_f16_e32 v86, 0x394e, v71
	v_mul_f16_e32 v28, 0xb9fd, v72
	v_fmamk_f16 v30, v61, 0xbb7b, v84
	v_fmamk_f16 v54, v60, 0xb9fd, v27
	v_mul_f16_e32 v55, 0xb3a8, v68
	v_add_f16_e32 v29, v46, v29
	v_fma_f16 v27, v60, 0xb9fd, -v27
	v_sub_f16_e32 v63, v22, v13
	v_mul_f16_e32 v87, 0xb9fd, v76
	v_mul_f16_e32 v64, 0x3bf1, v71
	v_fma_f16 v65, v62, 0xb9fd, -v86
	v_mul_f16_e32 v56, 0xbbc4, v72
	v_add_f16_e32 v30, v47, v30
	v_add_f16_e32 v54, v46, v54
	v_fmamk_f16 v57, v61, 0x394e, v28
	v_fmamk_f16 v58, v60, 0xbbc4, v55
	v_add_f16_e32 v27, v46, v27
	v_fmamk_f16 v66, v63, 0x394e, v87
	v_fmamk_f16 v67, v62, 0x2fb7, v64
	v_mul_f16_e32 v69, 0x2fb7, v76
	v_add_f16_e32 v29, v65, v29
	v_mul_f16_e32 v65, 0x3770, v71
	v_fma_f16 v64, v62, 0x2fb7, -v64
	v_sub_f16_e32 v75, v51, v41
	v_fmamk_f16 v59, v61, 0x33a8, v56
	v_add_f16_e32 v57, v47, v57
	v_add_f16_e32 v58, v46, v58
	;; [unrolled: 1-line block ×4, first 2 shown]
	v_fmamk_f16 v66, v63, 0xbbf1, v69
	v_mul_f16_e32 v67, 0x3b15, v76
	v_fmamk_f16 v70, v62, 0x3b15, v65
	v_add_f16_e32 v27, v64, v27
	v_add_f16_e32 v64, v16, v23
	v_mul_f16_e32 v88, 0x3770, v75
	v_fmac_f16_e32 v28, 0xb94e, v61
	v_add_f16_e32 v59, v47, v59
	v_fma_f16 v55, v60, 0xbbc4, -v55
	v_add_f16_e32 v57, v66, v57
	v_fmamk_f16 v66, v63, 0xb770, v67
	v_add_f16_e32 v58, v70, v58
	v_add_f16_e32 v78, v41, v51
	v_fma_f16 v70, v64, 0x3b15, -v88
	v_add_f16_e32 v28, v47, v28
	v_fmac_f16_e32 v56, 0xb3a8, v61
	v_add_f16_e32 v55, v46, v55
	v_fmac_f16_e32 v69, 0x3bf1, v63
	v_add_f16_e32 v59, v66, v59
	v_fma_f16 v66, v62, 0x3b15, -v65
	v_sub_f16_e32 v65, v23, v16
	v_mul_f16_e32 v89, 0x3b15, v78
	v_add_f16_e32 v29, v70, v29
	v_mul_f16_e32 v70, 0xb9fd, v78
	v_add_f16_e32 v56, v47, v56
	v_add_f16_e32 v28, v69, v28
	v_mul_f16_e32 v69, 0xba95, v75
	v_fmac_f16_e32 v67, 0x3770, v63
	v_add_f16_e32 v55, v66, v55
	v_fmamk_f16 v66, v65, 0x3770, v89
	v_fmamk_f16 v77, v65, 0x394e, v70
	v_fmamk_f16 v73, v64, 0x388b, v69
	v_add_f16_e32 v56, v67, v56
	v_mul_f16_e32 v67, 0x388b, v78
	v_add_f16_e32 v30, v66, v30
	v_mul_f16_e32 v66, 0xb94e, v75
	v_fma_f16 v69, v64, 0x388b, -v69
	v_add_f16_e32 v59, v77, v59
	v_sub_f16_e32 v77, v50, v43
	v_add_f16_e32 v54, v73, v54
	v_fmamk_f16 v73, v65, 0x3a95, v67
	v_fmamk_f16 v74, v64, 0xb9fd, v66
	v_add_f16_e32 v27, v69, v27
	v_fma_f16 v69, v64, 0xb9fd, -v66
	v_add_f16_e32 v66, v15, v24
	v_mul_f16_e32 v90, 0xbbf1, v77
	v_fmac_f16_e32 v67, 0xba95, v65
	v_add_f16_e32 v57, v73, v57
	v_add_f16_e32 v80, v43, v50
	v_mul_f16_e32 v73, 0x33a8, v77
	v_add_f16_e32 v55, v69, v55
	v_fma_f16 v69, v66, 0x2fb7, -v90
	v_add_f16_e32 v28, v67, v28
	v_sub_f16_e32 v67, v24, v15
	v_mul_f16_e32 v91, 0x2fb7, v80
	v_fmac_f16_e32 v70, 0xb94e, v65
	v_fmamk_f16 v79, v66, 0xbbc4, v73
	v_add_f16_e32 v29, v69, v29
	v_mul_f16_e32 v69, 0x3a95, v77
	v_add_f16_e32 v58, v74, v58
	v_fmamk_f16 v74, v67, 0xbbf1, v91
	v_add_f16_e32 v56, v70, v56
	v_mul_f16_e32 v70, 0xbbc4, v80
	v_add_f16_e32 v54, v79, v54
	v_fmamk_f16 v79, v66, 0x388b, v69
	v_add_f16_e32 v30, v74, v30
	v_mul_f16_e32 v83, 0x388b, v80
	v_fmamk_f16 v74, v67, 0xb3a8, v70
	v_fma_f16 v73, v66, 0xbbc4, -v73
	v_fmac_f16_e32 v70, 0x33a8, v67
	v_add_f16_e32 v58, v79, v58
	v_sub_f16_e32 v79, v49, v44
	v_add_f16_e32 v82, v44, v49
	v_add_f16_e32 v57, v74, v57
	v_fmamk_f16 v74, v67, 0xba95, v83
	v_add_f16_e32 v27, v73, v27
	v_add_f16_e32 v28, v70, v28
	v_fma_f16 v73, v66, 0x388b, -v69
	v_add_f16_e32 v69, v20, v25
	v_mul_f16_e32 v92, 0x33a8, v79
	v_sub_f16_e32 v70, v25, v20
	v_mul_f16_e32 v93, 0xbbc4, v82
	v_fmac_f16_e32 v83, 0x3a95, v67
	v_add_f16_e32 v59, v74, v59
	v_mul_f16_e32 v74, 0x3770, v79
	v_fma_f16 v85, v69, 0xbbc4, -v92
	v_add_f16_e32 v55, v73, v55
	v_fmamk_f16 v73, v70, 0x33a8, v93
	v_add_f16_e32 v56, v83, v56
	v_mul_f16_e32 v83, 0x3b15, v82
	v_fmamk_f16 v94, v69, 0x3b15, v74
	v_add_f16_e32 v29, v85, v29
	v_add_f16_e32 v30, v73, v30
	v_mul_f16_e32 v73, 0xbb7b, v79
	v_mul_f16_e32 v96, 0xb5ac, v82
	v_fmamk_f16 v85, v70, 0xb770, v83
	v_fmac_f16_e32 v83, 0x3770, v70
	v_add_f16_e32 v54, v94, v54
	v_fma_f16 v74, v69, 0x3b15, -v74
	v_fmamk_f16 v94, v69, 0xb5ac, v73
	v_fmamk_f16 v95, v70, 0x3b7b, v96
	v_add_f16_e32 v57, v85, v57
	v_add_f16_e32 v97, v83, v28
	v_sub_f16_e32 v83, v48, v45
	v_add_f16_e32 v85, v45, v48
	v_fma_f16 v28, v69, 0xb5ac, -v73
	v_add_f16_e32 v27, v74, v27
	v_add_f16_e32 v58, v94, v58
	;; [unrolled: 1-line block ×4, first 2 shown]
	v_sub_f16_e32 v74, v26, v19
	v_mul_f16_e32 v94, 0x3a95, v83
	v_mul_f16_e32 v95, 0x388b, v85
	v_add_f16_e32 v98, v28, v55
	v_mul_f16_e32 v55, 0xbb7b, v83
	v_fmac_f16_e32 v96, 0xbb7b, v70
	v_fma_f16 v28, v73, 0x388b, -v94
	v_fmamk_f16 v99, v74, 0x3a95, v95
	v_mul_f16_e32 v100, 0xb5ac, v85
	v_fmamk_f16 v101, v73, 0xb5ac, v55
	v_add_f16_e32 v96, v96, v56
	v_add_f16_e32 v28, v28, v29
	;; [unrolled: 1-line block ×3, first 2 shown]
	v_fmamk_f16 v29, v74, 0x3b7b, v100
	v_fma_f16 v30, v73, 0xb5ac, -v55
	v_add_f16_e32 v54, v101, v54
	v_mul_f16_e32 v99, 0x3bf1, v83
	v_mul_f16_e32 v101, 0x2fb7, v85
	v_add_f16_e32 v55, v29, v57
	v_add_f16_e32 v27, v30, v27
	v_fmac_f16_e32 v100, 0xbb7b, v74
	v_fmamk_f16 v29, v73, 0x2fb7, v99
	v_fmamk_f16 v30, v74, 0xbbf1, v101
	v_fma_f16 v99, v73, 0x2fb7, -v99
	v_fmac_f16_e32 v101, 0x3bf1, v74
	v_add_f16_e32 v57, v100, v97
	v_add_f16_e32 v29, v29, v58
	;; [unrolled: 1-line block ×5, first 2 shown]
	s_barrier
	buffer_gl0_inv
	s_and_saveexec_b32 s1, vcc_lo
	s_cbranch_execz .LBB0_17
; %bb.16:
	v_mul_f16_e32 v96, 0xbb7b, v61
	v_mul_f16_e32 v99, 0x394e, v63
	;; [unrolled: 1-line block ×3, first 2 shown]
	v_add_f16_e32 v21, v21, v46
	v_mul_f16_e32 v98, 0xb9fd, v62
	v_sub_f16_e32 v84, v84, v96
	v_mul_f16_e32 v96, 0x3770, v65
	v_sub_f16_e32 v87, v87, v99
	v_mul_f16_e32 v102, 0xbbf1, v67
	v_add_f16_e32 v81, v97, v81
	v_add_f16_e32 v84, v47, v84
	v_sub_f16_e32 v89, v89, v96
	v_add_f16_e32 v21, v22, v21
	v_mul_f16_e32 v100, 0x3b15, v64
	v_mul_f16_e32 v103, 0x33a8, v70
	v_add_f16_e32 v84, v87, v84
	v_sub_f16_e32 v91, v91, v102
	v_add_f16_e32 v86, v98, v86
	v_add_f16_e32 v81, v46, v81
	;; [unrolled: 1-line block ×4, first 2 shown]
	v_mul_f16_e32 v89, 0x2fb7, v72
	v_mul_f16_e32 v101, 0x2fb7, v66
	v_sub_f16_e32 v93, v93, v103
	v_add_f16_e32 v88, v100, v88
	v_add_f16_e32 v81, v86, v81
	v_add_f16_e32 v84, v91, v84
	v_mul_f16_e32 v86, 0x3a95, v74
	v_mul_f16_e32 v91, 0xbbc4, v76
	v_fmamk_f16 v96, v61, 0x3bf1, v89
	v_add_f16_e32 v21, v24, v21
	v_mul_f16_e32 v99, 0xbbc4, v69
	v_add_f16_e32 v81, v88, v81
	v_add_f16_e32 v84, v93, v84
	;; [unrolled: 1-line block ×3, first 2 shown]
	v_sub_f16_e32 v86, v95, v86
	v_add_f16_e32 v90, v47, v96
	v_fmamk_f16 v93, v63, 0x33a8, v91
	v_mul_f16_e32 v95, 0xb5ac, v78
	v_add_f16_e32 v21, v25, v21
	v_mul_f16_e32 v87, 0x388b, v73
	v_add_f16_e32 v81, v88, v81
	v_add_f16_e32 v88, v99, v92
	;; [unrolled: 1-line block ×4, first 2 shown]
	v_fmamk_f16 v90, v65, 0xbb7b, v95
	v_mul_f16_e32 v92, 0x3b15, v80
	v_add_f16_e32 v23, v53, v47
	v_add_f16_e32 v21, v26, v21
	;; [unrolled: 1-line block ×4, first 2 shown]
	v_mul_f16_e32 v88, 0xbbf1, v68
	v_add_f16_e32 v86, v90, v86
	v_fmamk_f16 v90, v67, 0xb770, v92
	v_mul_f16_e32 v93, 0x388b, v82
	v_add_f16_e32 v23, v52, v23
	v_add_f16_e32 v19, v19, v21
	v_add_f16_e32 v81, v87, v81
	v_fmamk_f16 v87, v60, 0x2fb7, v88
	v_mul_f16_e32 v94, 0xb3a8, v71
	v_add_f16_e32 v86, v90, v86
	v_fmamk_f16 v90, v70, 0x3a95, v93
	v_mul_f16_e32 v96, 0xb9fd, v85
	v_add_f16_e32 v23, v51, v23
	v_add_f16_e32 v19, v20, v19
	v_add_f16_e32 v87, v46, v87
	v_fmamk_f16 v97, v62, 0xbbc4, v94
	;; [unrolled: 8-line block ×3, first 2 shown]
	v_mul_f16_e32 v100, 0x3770, v77
	v_add_f16_e32 v86, v90, v86
	v_fmamk_f16 v90, v61, 0x3a95, v99
	v_mul_f16_e32 v101, 0xb5ac, v76
	v_mul_f16_e32 v107, 0xba95, v68
	;; [unrolled: 1-line block ×3, first 2 shown]
	v_add_f16_e32 v21, v49, v23
	v_add_f16_e32 v15, v16, v15
	;; [unrolled: 1-line block ×3, first 2 shown]
	v_fmamk_f16 v97, v66, 0x3b15, v100
	v_mul_f16_e32 v102, 0xba95, v79
	v_add_f16_e32 v90, v47, v90
	v_fmamk_f16 v103, v63, 0x3b7b, v101
	v_mul_f16_e32 v104, 0xbbc4, v78
	v_mul_f16_e32 v109, 0xbb7b, v71
	v_fmamk_f16 v53, v60, 0x3b15, v68
	v_mul_f16_e32 v71, 0xba95, v71
	v_add_f16_e32 v20, v48, v21
	v_add_f16_e32 v13, v13, v15
	v_fma_f16 v15, v60, 0x2fb7, -v88
	v_add_f16_e32 v87, v97, v87
	v_fmamk_f16 v97, v69, 0x388b, v102
	v_mul_f16_e32 v105, 0xb94e, v83
	v_add_f16_e32 v90, v103, v90
	v_fmamk_f16 v103, v65, 0x33a8, v104
	v_mul_f16_e32 v106, 0xb9fd, v80
	;; [unrolled: 3-line block ×3, first 2 shown]
	v_add_f16_e32 v19, v45, v20
	v_add_f16_e32 v13, v14, v13
	;; [unrolled: 1-line block ×3, first 2 shown]
	v_fma_f16 v15, v62, 0xbbc4, -v94
	v_add_f16_e32 v87, v97, v87
	v_fmamk_f16 v97, v73, 0xb9fd, v105
	v_add_f16_e32 v90, v103, v90
	v_fmamk_f16 v103, v67, 0xb94e, v106
	v_mul_f16_e32 v108, 0x2fb7, v82
	v_add_f16_e32 v24, v52, v24
	v_fmamk_f16 v51, v64, 0x2fb7, v53
	v_mul_f16_e32 v26, 0xbb7b, v77
	v_add_f16_e32 v16, v44, v19
	v_add_f16_e32 v14, v15, v14
	v_fma_f16 v15, v64, 0xb5ac, -v98
	v_add_f16_e32 v87, v97, v87
	v_fmamk_f16 v97, v60, 0x388b, v107
	v_add_f16_e32 v90, v103, v90
	v_fmamk_f16 v103, v70, 0xbbf1, v108
	v_mul_f16_e32 v110, 0x3b15, v85
	v_add_f16_e32 v24, v51, v24
	v_fmamk_f16 v23, v66, 0xb5ac, v26
	v_mul_f16_e32 v49, 0xb94e, v79
	v_add_f16_e32 v16, v43, v16
	v_add_f16_e32 v14, v15, v14
	v_fma_f16 v15, v66, 0x3b15, -v100
	v_add_f16_e32 v97, v46, v97
	v_fmamk_f16 v111, v62, 0xb5ac, v109
	v_mul_f16_e32 v112, 0xb3a8, v75
	v_add_f16_e32 v90, v103, v90
	v_fmamk_f16 v103, v74, 0xb770, v110
	v_mul_f16_e32 v72, 0x3b15, v72
	v_add_f16_e32 v21, v23, v24
	v_fmamk_f16 v23, v69, 0xb9fd, v49
	v_add_f16_e32 v16, v41, v16
	v_add_f16_e32 v14, v15, v14
	v_fma_f16 v15, v69, 0x388b, -v102
	v_add_f16_e32 v97, v111, v97
	v_fmamk_f16 v111, v64, 0xbbc4, v112
	v_mul_f16_e32 v113, 0x394e, v77
	v_add_f16_e32 v90, v103, v90
	v_fmamk_f16 v103, v61, 0x3770, v72
	v_mul_f16_e32 v76, 0x388b, v76
	v_mul_f16_e32 v24, 0xb3a8, v83
	v_add_f16_e32 v20, v23, v21
	v_add_f16_e32 v16, v40, v16
	;; [unrolled: 1-line block ×3, first 2 shown]
	v_fma_f16 v15, v73, 0xb9fd, -v105
	v_fma_f16 v23, v60, 0x388b, -v107
	v_add_f16_e32 v97, v111, v97
	v_fmamk_f16 v111, v66, 0xb9fd, v113
	v_mul_f16_e32 v114, 0x3bf1, v79
	v_add_f16_e32 v103, v47, v103
	v_fmamk_f16 v115, v63, 0x3a95, v76
	v_mul_f16_e32 v78, 0x2fb7, v78
	v_fmac_f16_e32 v89, 0xbbf1, v61
	v_fmamk_f16 v21, v73, 0xbbc4, v24
	v_fmac_f16_e32 v99, 0xba95, v61
	v_add_f16_e32 v16, v39, v16
	v_add_f16_e32 v14, v15, v14
	;; [unrolled: 1-line block ×3, first 2 shown]
	v_fma_f16 v23, v62, 0xb5ac, -v109
	v_fmac_f16_e32 v72, 0xb770, v61
	v_fma_f16 v39, v60, 0x3b15, -v68
	v_add_f16_e32 v97, v111, v97
	v_fmamk_f16 v111, v69, 0x2fb7, v114
	v_mul_f16_e32 v116, 0x3770, v83
	v_add_f16_e32 v103, v115, v103
	v_fmamk_f16 v115, v65, 0x3bf1, v78
	v_mul_f16_e32 v80, 0xb5ac, v80
	v_add_f16_e32 v19, v47, v89
	v_fmac_f16_e32 v91, 0xb3a8, v63
	v_add_f16_e32 v20, v21, v20
	v_add_f16_e32 v21, v47, v99
	v_fmac_f16_e32 v101, 0xbb7b, v63
	v_add_f16_e32 v15, v23, v15
	v_fma_f16 v23, v64, 0xbbc4, -v112
	v_add_f16_e32 v40, v47, v72
	v_fmac_f16_e32 v76, 0xba95, v63
	v_add_f16_e32 v39, v46, v39
	v_fma_f16 v41, v62, 0x388b, -v71
	v_add_f16_e32 v97, v111, v97
	v_fmamk_f16 v111, v73, 0x3b15, v116
	v_add_f16_e32 v103, v115, v103
	v_fmamk_f16 v115, v67, 0x3b7b, v80
	v_mul_f16_e32 v82, 0xb9fd, v82
	v_add_f16_e32 v19, v91, v19
	v_fmac_f16_e32 v95, 0x3b7b, v65
	v_add_f16_e32 v21, v101, v21
	v_fmac_f16_e32 v104, 0xb3a8, v65
	v_add_f16_e32 v15, v23, v15
	v_fma_f16 v23, v66, 0xb9fd, -v113
	v_add_f16_e32 v40, v76, v40
	v_fmac_f16_e32 v78, 0xbbf1, v65
	v_add_f16_e32 v39, v41, v39
	v_fma_f16 v41, v64, 0x2fb7, -v53
	v_add_f16_e32 v22, v111, v97
	v_add_f16_e32 v97, v115, v103
	v_fmamk_f16 v103, v70, 0x394e, v82
	v_mul_f16_e32 v25, 0xbbc4, v85
	v_add_f16_e32 v19, v95, v19
	v_fmac_f16_e32 v92, 0x3770, v67
	v_add_f16_e32 v21, v104, v21
	v_fmac_f16_e32 v106, 0x394e, v67
	v_add_f16_e32 v15, v23, v15
	v_fma_f16 v23, v69, 0x2fb7, -v114
	v_add_f16_e32 v40, v78, v40
	v_fmac_f16_e32 v80, 0xbb7b, v67
	v_add_f16_e32 v39, v41, v39
	v_fma_f16 v26, v66, 0xb5ac, -v26
	v_add_f16_e32 v97, v103, v97
	v_fmamk_f16 v50, v74, 0x33a8, v25
	v_add_f16_e32 v19, v92, v19
	v_fmac_f16_e32 v93, 0xba95, v70
	v_add_f16_e32 v21, v106, v21
	v_fmac_f16_e32 v108, 0x3bf1, v70
	v_add_f16_e32 v15, v23, v15
	v_add_f16_e32 v23, v80, v40
	v_fmac_f16_e32 v82, 0xb94e, v70
	v_add_f16_e32 v26, v26, v39
	v_fma_f16 v39, v69, 0xb9fd, -v49
	v_add_f16_e32 v50, v50, v97
	v_and_b32_e32 v36, 0xffff, v36
	v_add_f16_e32 v19, v93, v19
	v_fmac_f16_e32 v96, 0xb94e, v74
	v_add_f16_e32 v21, v108, v21
	v_fmac_f16_e32 v110, 0x3770, v74
	v_fma_f16 v40, v73, 0x3b15, -v116
	v_add_f16_e32 v23, v82, v23
	v_fmac_f16_e32 v25, 0xb3a8, v74
	v_add_f16_e32 v26, v39, v26
	v_fma_f16 v24, v73, 0xbbc4, -v24
	v_lshl_add_u32 v36, v36, 2, v33
	v_pack_b32_f16 v20, v20, v50
	v_pack_b32_f16 v13, v13, v16
	;; [unrolled: 1-line block ×4, first 2 shown]
	v_add_f16_e32 v19, v96, v19
	v_add_f16_e32 v21, v110, v21
	;; [unrolled: 1-line block ×5, first 2 shown]
	ds_write2_b32 v36, v13, v20 offset1:1
	ds_write2_b32 v36, v22, v16 offset0:2 offset1:3
	v_pack_b32_f16 v13, v81, v84
	v_perm_b32 v16, v55, v54, 0x5040100
	v_perm_b32 v20, v59, v30, 0x5040100
	;; [unrolled: 1-line block ×5, first 2 shown]
	v_pack_b32_f16 v15, v15, v21
	v_pack_b32_f16 v14, v14, v19
	;; [unrolled: 1-line block ×3, first 2 shown]
	ds_write2_b32 v36, v13, v16 offset0:4 offset1:5
	ds_write2_b32 v36, v22, v20 offset0:6 offset1:7
	;; [unrolled: 1-line block ×4, first 2 shown]
	ds_write_b32 v36, v19 offset:48
.LBB0_17:
	s_or_b32 exec_lo, exec_lo, s1
	v_add_nc_u32_e32 v15, 0x200, v35
	s_waitcnt lgkmcnt(0)
	s_barrier
	buffer_gl0_inv
	ds_read2_b32 v[13:14], v35 offset1:91
	ds_read2_b32 v[15:16], v15 offset0:54 offset1:145
	ds_read_b32 v19, v35 offset:1456
	s_and_saveexec_b32 s1, s0
	s_cbranch_execz .LBB0_19
; %bb.18:
	v_add_nc_u32_e32 v20, 0x400, v35
	ds_read_b32 v54, v35 offset:260
	ds_read2_b32 v[29:30], v35 offset0:156 offset1:247
	ds_read2_b32 v[27:28], v20 offset0:82 offset1:173
	s_waitcnt lgkmcnt(2)
	v_lshrrev_b32_e32 v55, 16, v54
	s_waitcnt lgkmcnt(1)
	v_lshrrev_b32_e32 v58, 16, v29
	v_lshrrev_b32_e32 v59, 16, v30
	s_waitcnt lgkmcnt(0)
	v_lshrrev_b32_e32 v57, 16, v27
	v_lshrrev_b32_e32 v56, 16, v28
.LBB0_19:
	s_or_b32 exec_lo, exec_lo, s1
	s_waitcnt lgkmcnt(1)
	v_lshrrev_b32_e32 v20, 16, v15
	v_lshrrev_b32_e32 v21, 16, v16
	;; [unrolled: 1-line block ×3, first 2 shown]
	s_waitcnt lgkmcnt(0)
	v_lshrrev_b32_e32 v23, 16, v19
	v_mul_f16_sdwa v26, v4, v14 dst_sel:DWORD dst_unused:UNUSED_PAD src0_sel:WORD_1 src1_sel:DWORD
	v_mul_f16_sdwa v24, v5, v20 dst_sel:DWORD dst_unused:UNUSED_PAD src0_sel:WORD_1 src1_sel:DWORD
	;; [unrolled: 1-line block ×5, first 2 shown]
	v_fma_f16 v22, v4, v22, -v26
	v_fmac_f16_e32 v24, v5, v15
	v_fmac_f16_e32 v25, v6, v16
	v_mul_f16_sdwa v15, v7, v19 dst_sel:DWORD dst_unused:UNUSED_PAD src0_sel:WORD_1 src1_sel:DWORD
	v_mul_f16_sdwa v16, v6, v16 dst_sel:DWORD dst_unused:UNUSED_PAD src0_sel:WORD_1 src1_sel:DWORD
	v_fmac_f16_e32 v39, v4, v14
	v_fma_f16 v5, v5, v20, -v36
	v_add_f16_e32 v4, v24, v25
	v_fma_f16 v14, v7, v23, -v15
	v_mul_f16_sdwa v15, v7, v23 dst_sel:DWORD dst_unused:UNUSED_PAD src0_sel:WORD_1 src1_sel:DWORD
	v_add_f16_e32 v20, v13, v39
	v_fma_f16 v6, v6, v21, -v16
	v_fma_f16 v4, -0.5, v4, v13
	v_sub_f16_e32 v23, v22, v14
	v_fmac_f16_e32 v15, v7, v19
	v_add_f16_e32 v7, v20, v24
	v_sub_f16_e32 v20, v5, v6
	v_sub_f16_e32 v21, v39, v24
	v_fmamk_f16 v19, v23, 0xbb9c, v4
	v_sub_f16_e32 v26, v15, v25
	v_fmac_f16_e32 v4, 0x3b9c, v23
	v_add_f16_e32 v36, v39, v15
	v_lshrrev_b32_e32 v16, 16, v13
	v_fmac_f16_e32 v19, 0xb8b4, v20
	v_add_f16_e32 v21, v21, v26
	v_fmac_f16_e32 v4, 0x38b4, v20
	v_fmac_f16_e32 v13, -0.5, v36
	v_add_f16_e32 v7, v7, v25
	v_add_f16_e32 v26, v5, v6
	v_fmac_f16_e32 v19, 0x34f2, v21
	v_fmac_f16_e32 v4, 0x34f2, v21
	v_fmamk_f16 v21, v20, 0x3b9c, v13
	v_sub_f16_e32 v36, v24, v39
	v_sub_f16_e32 v40, v25, v15
	v_fmac_f16_e32 v13, 0xbb9c, v20
	v_add_f16_e32 v7, v7, v15
	v_add_f16_e32 v20, v16, v22
	v_sub_f16_e32 v15, v39, v15
	v_add_f16_e32 v39, v22, v14
	v_fma_f16 v26, -0.5, v26, v16
	v_fmac_f16_e32 v21, 0xb8b4, v23
	v_add_f16_e32 v36, v36, v40
	v_fmac_f16_e32 v13, 0x38b4, v23
	v_add_f16_e32 v20, v20, v5
	v_sub_f16_e32 v24, v24, v25
	v_fmac_f16_e32 v16, -0.5, v39
	v_fmamk_f16 v23, v15, 0x3b9c, v26
	v_fmac_f16_e32 v21, 0x34f2, v36
	v_fmac_f16_e32 v13, 0x34f2, v36
	v_sub_f16_e32 v25, v22, v5
	v_sub_f16_e32 v36, v14, v6
	v_add_f16_e32 v20, v20, v6
	v_fmamk_f16 v39, v24, 0xbb9c, v16
	v_sub_f16_e32 v5, v5, v22
	v_sub_f16_e32 v6, v6, v14
	v_fmac_f16_e32 v16, 0x3b9c, v24
	v_fmac_f16_e32 v26, 0xbb9c, v15
	v_fmac_f16_e32 v23, 0x38b4, v24
	v_add_f16_e32 v22, v25, v36
	v_fmac_f16_e32 v39, 0x38b4, v15
	v_add_f16_e32 v5, v5, v6
	v_fmac_f16_e32 v16, 0xb8b4, v15
	v_fmac_f16_e32 v26, 0xb8b4, v24
	v_add_f16_e32 v6, v20, v14
	v_fmac_f16_e32 v23, 0x34f2, v22
	v_fmac_f16_e32 v39, 0x34f2, v5
	;; [unrolled: 1-line block ×4, first 2 shown]
	v_pack_b32_f16 v5, v7, v6
	v_pack_b32_f16 v6, v19, v23
	;; [unrolled: 1-line block ×5, first 2 shown]
	s_barrier
	buffer_gl0_inv
	ds_write2_b32 v42, v5, v6 offset1:13
	ds_write2_b32 v42, v7, v13 offset0:26 offset1:39
	ds_write_b32 v42, v4 offset:208
	s_and_saveexec_b32 s1, s0
	s_cbranch_execz .LBB0_21
; %bb.20:
	v_mul_f16_sdwa v4, v0, v29 dst_sel:DWORD dst_unused:UNUSED_PAD src0_sel:WORD_1 src1_sel:DWORD
	v_mul_f16_sdwa v5, v1, v30 dst_sel:DWORD dst_unused:UNUSED_PAD src0_sel:WORD_1 src1_sel:DWORD
	;; [unrolled: 1-line block ×8, first 2 shown]
	v_fma_f16 v4, v0, v58, -v4
	v_fma_f16 v5, v1, v59, -v5
	;; [unrolled: 1-line block ×3, first 2 shown]
	v_fmac_f16_e32 v13, v1, v30
	v_fmac_f16_e32 v14, v2, v27
	;; [unrolled: 1-line block ×4, first 2 shown]
	v_fma_f16 v1, v3, v56, -v6
	v_sub_f16_e32 v3, v4, v5
	v_add_f16_e32 v0, v5, v7
	v_sub_f16_e32 v23, v15, v13
	v_sub_f16_e32 v24, v16, v14
	;; [unrolled: 1-line block ×4, first 2 shown]
	v_fma_f16 v0, -0.5, v0, v55
	v_sub_f16_e32 v21, v13, v14
	v_add_f16_e32 v23, v24, v23
	v_add_f16_e32 v3, v19, v3
	;; [unrolled: 1-line block ×4, first 2 shown]
	v_sub_f16_e32 v26, v5, v7
	v_sub_f16_e32 v4, v5, v4
	v_add_f16_e32 v2, v13, v14
	v_add_f16_e32 v19, v5, v19
	v_fmac_f16_e32 v55, -0.5, v24
	v_sub_f16_e32 v5, v7, v1
	v_sub_f16_e32 v6, v15, v16
	v_add_f16_e32 v27, v54, v15
	v_add_f16_e32 v19, v7, v19
	v_fmamk_f16 v7, v21, 0x3b9c, v55
	v_fmac_f16_e32 v55, 0xbb9c, v21
	v_add_f16_e32 v4, v5, v4
	v_add_f16_e32 v5, v16, v15
	v_fma_f16 v2, -0.5, v2, v54
	v_add_f16_e32 v24, v13, v27
	v_fmac_f16_e32 v7, 0xb8b4, v6
	v_fmac_f16_e32 v55, 0x38b4, v6
	v_fmac_f16_e32 v54, -0.5, v5
	v_fmamk_f16 v22, v6, 0x3b9c, v0
	v_fmamk_f16 v25, v20, 0xbb9c, v2
	v_mov_b32_e32 v5, 0x41
	v_add_f16_e32 v1, v1, v19
	v_add_f16_e32 v19, v14, v24
	v_fmac_f16_e32 v7, 0x34f2, v4
	v_fmac_f16_e32 v55, 0x34f2, v4
	v_sub_f16_e32 v4, v13, v15
	v_sub_f16_e32 v13, v14, v16
	v_fmamk_f16 v14, v26, 0xbb9c, v54
	v_fmac_f16_e32 v54, 0x3b9c, v26
	v_fmac_f16_e32 v0, 0xbb9c, v6
	;; [unrolled: 1-line block ×5, first 2 shown]
	v_mul_u32_u24_sdwa v5, v38, v5 dst_sel:DWORD dst_unused:UNUSED_PAD src0_sel:WORD_0 src1_sel:DWORD
	v_add_f16_e32 v4, v13, v4
	v_fmac_f16_e32 v14, 0x38b4, v20
	v_fmac_f16_e32 v54, 0xb8b4, v20
	;; [unrolled: 1-line block ×6, first 2 shown]
	v_add_f16_e32 v6, v16, v19
	v_add_nc_u32_sdwa v5, v5, v37 dst_sel:DWORD dst_unused:UNUSED_PAD src0_sel:DWORD src1_sel:BYTE_0
	v_fmac_f16_e32 v14, 0x34f2, v4
	v_fmac_f16_e32 v54, 0x34f2, v4
	;; [unrolled: 1-line block ×4, first 2 shown]
	v_lshl_add_u32 v3, v5, 2, v33
	v_pack_b32_f16 v1, v6, v1
	v_pack_b32_f16 v4, v25, v22
	;; [unrolled: 1-line block ×5, first 2 shown]
	ds_write2_b32 v3, v1, v4 offset1:13
	ds_write2_b32 v3, v5, v6 offset0:26 offset1:39
	ds_write_b32 v3, v0 offset:208
.LBB0_21:
	s_or_b32 exec_lo, exec_lo, s1
	s_waitcnt lgkmcnt(0)
	s_barrier
	buffer_gl0_inv
	ds_read2_b32 v[0:1], v35 offset0:65 offset1:130
	v_add_nc_u32_e32 v2, 0x200, v35
	v_add_nc_u32_e32 v4, 0x400, v35
	ds_read2_b32 v[2:3], v2 offset0:67 offset1:132
	ds_read2_b32 v[4:5], v4 offset0:69 offset1:134
	ds_read_b32 v6, v35
	s_waitcnt lgkmcnt(3)
	v_lshrrev_b32_e32 v7, 16, v0
	v_lshrrev_b32_e32 v13, 16, v1
	v_mul_f16_sdwa v14, v8, v0 dst_sel:DWORD dst_unused:UNUSED_PAD src0_sel:WORD_1 src1_sel:DWORD
	v_mul_f16_sdwa v15, v9, v1 dst_sel:DWORD dst_unused:UNUSED_PAD src0_sel:WORD_1 src1_sel:DWORD
	s_waitcnt lgkmcnt(2)
	v_lshrrev_b32_e32 v16, 16, v2
	s_waitcnt lgkmcnt(1)
	v_lshrrev_b32_e32 v20, 16, v4
	v_lshrrev_b32_e32 v21, 16, v5
	v_mul_f16_sdwa v22, v8, v7 dst_sel:DWORD dst_unused:UNUSED_PAD src0_sel:WORD_1 src1_sel:DWORD
	v_fma_f16 v7, v8, v7, -v14
	v_mul_f16_sdwa v14, v9, v13 dst_sel:DWORD dst_unused:UNUSED_PAD src0_sel:WORD_1 src1_sel:DWORD
	v_fma_f16 v13, v9, v13, -v15
	v_mul_f16_sdwa v15, v10, v2 dst_sel:DWORD dst_unused:UNUSED_PAD src0_sel:WORD_1 src1_sel:DWORD
	v_lshrrev_b32_e32 v19, 16, v3
	v_mul_f16_sdwa v23, v11, v3 dst_sel:DWORD dst_unused:UNUSED_PAD src0_sel:WORD_1 src1_sel:DWORD
	v_mul_f16_sdwa v24, v17, v4 dst_sel:DWORD dst_unused:UNUSED_PAD src0_sel:WORD_1 src1_sel:DWORD
	;; [unrolled: 1-line block ×3, first 2 shown]
	v_fmac_f16_e32 v22, v8, v0
	v_fmac_f16_e32 v14, v9, v1
	v_mul_f16_sdwa v0, v10, v16 dst_sel:DWORD dst_unused:UNUSED_PAD src0_sel:WORD_1 src1_sel:DWORD
	v_fma_f16 v1, v10, v16, -v15
	v_mul_f16_sdwa v9, v18, v21 dst_sel:DWORD dst_unused:UNUSED_PAD src0_sel:WORD_1 src1_sel:DWORD
	v_mul_f16_sdwa v16, v17, v20 dst_sel:DWORD dst_unused:UNUSED_PAD src0_sel:WORD_1 src1_sel:DWORD
	;; [unrolled: 1-line block ×3, first 2 shown]
	v_fma_f16 v15, v11, v19, -v23
	v_fma_f16 v19, v17, v20, -v24
	;; [unrolled: 1-line block ×3, first 2 shown]
	v_fmac_f16_e32 v9, v18, v5
	v_fmac_f16_e32 v16, v17, v4
	;; [unrolled: 1-line block ×4, first 2 shown]
	v_add_f16_e32 v2, v7, v20
	v_add_f16_e32 v3, v22, v9
	v_sub_f16_e32 v4, v22, v9
	v_sub_f16_e32 v5, v7, v20
	v_add_f16_e32 v7, v14, v16
	v_add_f16_e32 v9, v13, v19
	v_sub_f16_e32 v10, v14, v16
	v_sub_f16_e32 v11, v13, v19
	;; [unrolled: 4-line block ×4, first 2 shown]
	v_sub_f16_e32 v3, v3, v13
	v_sub_f16_e32 v2, v2, v14
	;; [unrolled: 1-line block ×4, first 2 shown]
	v_add_f16_e32 v18, v0, v10
	v_add_f16_e32 v19, v1, v11
	v_sub_f16_e32 v20, v0, v10
	v_sub_f16_e32 v21, v1, v11
	v_add_f16_e32 v8, v13, v8
	v_add_f16_e32 v13, v14, v15
	v_sub_f16_e32 v10, v10, v4
	v_sub_f16_e32 v11, v11, v5
	;; [unrolled: 1-line block ×4, first 2 shown]
	v_add_f16_e32 v4, v18, v4
	v_add_f16_e32 v5, v19, v5
	s_waitcnt lgkmcnt(0)
	v_add_f16_e32 v14, v6, v8
	v_add_f16_sdwa v6, v6, v13 dst_sel:DWORD dst_unused:UNUSED_PAD src0_sel:WORD_1 src1_sel:DWORD
	v_mul_f16_e32 v3, 0x3a52, v3
	v_mul_f16_e32 v2, 0x3a52, v2
	;; [unrolled: 1-line block ×8, first 2 shown]
	v_fmamk_f16 v8, v8, 0xbcab, v14
	v_fmamk_f16 v13, v13, 0xbcab, v6
	;; [unrolled: 1-line block ×4, first 2 shown]
	v_fma_f16 v15, v16, 0x39e0, -v15
	v_fma_f16 v18, v17, 0x39e0, -v18
	;; [unrolled: 1-line block ×4, first 2 shown]
	v_fmamk_f16 v16, v0, 0xb574, v19
	v_fmamk_f16 v17, v1, 0xb574, v20
	v_fma_f16 v0, v0, 0x3574, -v21
	v_fma_f16 v1, v1, 0x3574, -v22
	;; [unrolled: 1-line block ×4, first 2 shown]
	v_add_f16_e32 v7, v7, v8
	v_add_f16_e32 v9, v9, v13
	v_fmac_f16_e32 v16, 0xb70e, v4
	v_fmac_f16_e32 v17, 0xb70e, v5
	v_add_f16_e32 v3, v3, v8
	v_add_f16_e32 v2, v2, v13
	v_fmac_f16_e32 v1, 0xb70e, v5
	v_fmac_f16_e32 v0, 0xb70e, v4
	;; [unrolled: 4-line block ×3, first 2 shown]
	v_add_f16_e32 v4, v17, v7
	v_sub_f16_e32 v5, v9, v16
	v_add_f16_e32 v8, v1, v3
	v_sub_f16_e32 v13, v2, v0
	v_sub_f16_e32 v19, v15, v11
	v_add_f16_e32 v20, v10, v18
	v_add_f16_e32 v11, v11, v15
	v_sub_f16_e32 v10, v18, v10
	v_sub_f16_e32 v1, v3, v1
	v_add_f16_e32 v0, v0, v2
	v_sub_f16_e32 v2, v7, v17
	v_add_f16_e32 v3, v16, v9
	v_pack_b32_f16 v6, v14, v6
	v_pack_b32_f16 v7, v4, v5
	v_add_nc_u32_e32 v5, 0x200, v34
	v_add_nc_u32_e32 v4, 0x400, v34
	v_pack_b32_f16 v8, v8, v13
	v_pack_b32_f16 v9, v19, v20
	;; [unrolled: 1-line block ×5, first 2 shown]
	ds_write_b32 v34, v6
	ds_write2_b32 v34, v7, v8 offset0:65 offset1:130
	ds_write2_b32 v5, v9, v10 offset0:67 offset1:132
	;; [unrolled: 1-line block ×3, first 2 shown]
	s_waitcnt lgkmcnt(0)
	s_barrier
	buffer_gl0_inv
	s_and_b32 exec_lo, exec_lo, vcc_lo
	s_cbranch_execz .LBB0_23
; %bb.22:
	s_clause 0x5
	global_load_dword v2, v31, s[20:21]
	global_load_dword v3, v31, s[20:21] offset:140
	global_load_dword v10, v31, s[20:21] offset:280
	;; [unrolled: 1-line block ×5, first 2 shown]
	v_mad_u64_u32 v[13:14], null, s6, v12, 0
	v_mad_u64_u32 v[15:16], null, s4, v32, 0
	ds_read_b32 v26, v34
	ds_read2_b32 v[17:18], v34 offset0:35 offset1:70
	ds_read2_b32 v[19:20], v34 offset0:105 offset1:140
	;; [unrolled: 1-line block ×3, first 2 shown]
	v_mov_b32_e32 v6, v14
	s_mov_b32 s22, 0x12012012
	v_mov_b32_e32 v7, v16
	s_mov_b32 s23, 0x3f620120
	s_mul_i32 s0, s5, 0x8c
	s_mul_hi_u32 s24, s4, 0x8c
	s_mul_i32 s19, s4, 0x8c
	v_mad_u64_u32 v[21:22], null, s7, v12, v[6:7]
	v_mad_u64_u32 v[22:23], null, s5, v32, v[7:8]
	s_add_i32 s24, s24, s0
	s_clause 0x3
	global_load_dword v9, v31, s[20:21] offset:840
	global_load_dword v6, v31, s[20:21] offset:980
	;; [unrolled: 1-line block ×4, first 2 shown]
	v_mov_b32_e32 v14, v21
	s_waitcnt lgkmcnt(3)
	v_lshrrev_b32_e32 v21, 16, v26
	s_waitcnt lgkmcnt(2)
	v_lshrrev_b32_e32 v23, 16, v17
	v_mov_b32_e32 v16, v22
	v_lshrrev_b32_e32 v27, 16, v18
	v_lshlrev_b64 v[12:13], 2, v[13:14]
	s_waitcnt lgkmcnt(1)
	v_lshrrev_b32_e32 v22, 16, v19
	v_lshrrev_b32_e32 v28, 16, v20
	v_lshlrev_b64 v[14:15], 2, v[15:16]
	s_waitcnt lgkmcnt(0)
	v_lshrrev_b32_e32 v29, 16, v0
	v_add_co_u32 v30, vcc_lo, s8, v12
	v_add_co_ci_u32_e32 v38, vcc_lo, s9, v13, vcc_lo
	v_add_co_u32 v14, vcc_lo, v30, v14
	v_add_co_ci_u32_e32 v15, vcc_lo, v38, v15, vcc_lo
	v_add_co_u32 v38, vcc_lo, v14, s19
	s_waitcnt vmcnt(9)
	v_mul_f16_sdwa v12, v21, v2 dst_sel:DWORD dst_unused:UNUSED_PAD src0_sel:DWORD src1_sel:WORD_1
	v_mul_f16_sdwa v13, v26, v2 dst_sel:DWORD dst_unused:UNUSED_PAD src0_sel:DWORD src1_sel:WORD_1
	s_waitcnt vmcnt(8)
	v_mul_f16_sdwa v16, v23, v3 dst_sel:DWORD dst_unused:UNUSED_PAD src0_sel:DWORD src1_sel:WORD_1
	v_mul_f16_sdwa v32, v17, v3 dst_sel:DWORD dst_unused:UNUSED_PAD src0_sel:DWORD src1_sel:WORD_1
	s_waitcnt vmcnt(7)
	v_mul_f16_sdwa v33, v27, v10 dst_sel:DWORD dst_unused:UNUSED_PAD src0_sel:DWORD src1_sel:WORD_1
	v_fmac_f16_e32 v12, v26, v2
	v_mul_f16_sdwa v34, v18, v10 dst_sel:DWORD dst_unused:UNUSED_PAD src0_sel:DWORD src1_sel:WORD_1
	s_waitcnt vmcnt(6)
	v_mul_f16_sdwa v35, v22, v11 dst_sel:DWORD dst_unused:UNUSED_PAD src0_sel:DWORD src1_sel:WORD_1
	v_mul_f16_sdwa v36, v19, v11 dst_sel:DWORD dst_unused:UNUSED_PAD src0_sel:DWORD src1_sel:WORD_1
	v_fma_f16 v2, v2, v21, -v13
	v_fmac_f16_e32 v16, v17, v3
	v_fma_f16 v13, v3, v23, -v32
	v_cvt_f32_f16_e32 v3, v12
	s_waitcnt vmcnt(5)
	v_mul_f16_sdwa v37, v28, v24 dst_sel:DWORD dst_unused:UNUSED_PAD src0_sel:DWORD src1_sel:WORD_1
	v_mul_f16_sdwa v39, v20, v24 dst_sel:DWORD dst_unused:UNUSED_PAD src0_sel:DWORD src1_sel:WORD_1
	v_fmac_f16_e32 v33, v18, v10
	v_fma_f16 v10, v10, v27, -v34
	v_fmac_f16_e32 v35, v19, v11
	v_fma_f16 v17, v11, v22, -v36
	v_cvt_f32_f16_e32 v11, v2
	v_cvt_f64_f32_e32 v[2:3], v3
	v_fmac_f16_e32 v37, v20, v24
	v_fma_f16 v12, v24, v28, -v39
	v_cvt_f32_f16_e32 v16, v16
	v_cvt_f32_f16_e32 v20, v10
	v_cvt_f64_f32_e32 v[10:11], v11
	v_cvt_f32_f16_e32 v18, v13
	v_cvt_f32_f16_e32 v28, v12
	v_cvt_f64_f32_e32 v[12:13], v16
	;; [unrolled: 3-line block ×4, first 2 shown]
	v_cvt_f64_f32_e32 v[20:21], v20
	s_waitcnt vmcnt(4)
	v_mul_f16_sdwa v40, v29, v25 dst_sel:DWORD dst_unused:UNUSED_PAD src0_sel:DWORD src1_sel:WORD_1
	v_mul_f16_sdwa v41, v0, v25 dst_sel:DWORD dst_unused:UNUSED_PAD src0_sel:DWORD src1_sel:WORD_1
	v_cvt_f64_f32_e32 v[22:23], v22
	v_cvt_f64_f32_e32 v[26:27], v26
	v_add_co_ci_u32_e32 v39, vcc_lo, s24, v15, vcc_lo
	v_mul_f64 v[36:37], v[2:3], s[22:23]
	v_fmac_f16_e32 v40, v0, v25
	v_fma_f16 v0, v25, v29, -v41
	v_cvt_f64_f32_e32 v[24:25], v24
	v_cvt_f64_f32_e32 v[28:29], v28
	v_mul_f64 v[10:11], v[10:11], s[22:23]
	v_cvt_f32_f16_e32 v32, v40
	v_cvt_f32_f16_e32 v0, v0
	v_mul_f64 v[12:13], v[12:13], s[22:23]
	v_add_co_u32 v40, vcc_lo, v38, s19
	v_mul_f64 v[16:17], v[16:17], s[22:23]
	v_cvt_f64_f32_e32 v[34:35], v0
	v_add_co_ci_u32_e32 v41, vcc_lo, s24, v39, vcc_lo
	v_mul_f64 v[18:19], v[18:19], s[22:23]
	v_mul_f64 v[20:21], v[20:21], s[22:23]
	v_cvt_f64_f32_e32 v[32:33], v32
	v_mul_f64 v[22:23], v[22:23], s[22:23]
	v_mul_f64 v[26:27], v[26:27], s[22:23]
	v_and_or_b32 v0, 0x1ff, v37, v36
	v_lshrrev_b32_e32 v30, 8, v37
	v_mul_f64 v[24:25], v[24:25], s[22:23]
	v_mul_f64 v[28:29], v[28:29], s[22:23]
	v_and_or_b32 v10, 0x1ff, v11, v10
	v_cmp_ne_u32_e32 vcc_lo, 0, v0
	v_lshrrev_b32_e32 v36, 8, v11
	v_and_or_b32 v12, 0x1ff, v13, v12
	v_lshrrev_b32_e32 v42, 8, v13
	v_bfe_u32 v43, v13, 20, 11
	v_cndmask_b32_e64 v0, 0, 1, vcc_lo
	v_cmp_ne_u32_e32 vcc_lo, 0, v10
	v_and_or_b32 v16, 0x1ff, v17, v16
	v_mul_f64 v[2:3], v[34:35], s[22:23]
	v_and_or_b32 v18, 0x1ff, v19, v18
	v_and_or_b32 v20, 0x1ff, v21, v20
	v_cndmask_b32_e64 v10, 0, 1, vcc_lo
	v_cmp_ne_u32_e32 vcc_lo, 0, v12
	v_mul_f64 v[32:33], v[32:33], s[22:23]
	v_and_or_b32 v22, 0x1ff, v23, v22
	v_and_or_b32 v26, 0x1ff, v27, v26
	v_bfe_u32 v34, v37, 20, 11
	v_cndmask_b32_e64 v12, 0, 1, vcc_lo
	v_cmp_ne_u32_e32 vcc_lo, 0, v16
	v_and_or_b32 v24, 0x1ff, v25, v24
	v_and_or_b32 v28, 0x1ff, v29, v28
	v_lshrrev_b32_e32 v35, 16, v37
	v_bfe_u32 v37, v11, 20, 11
	v_cndmask_b32_e64 v16, 0, 1, vcc_lo
	v_cmp_ne_u32_e32 vcc_lo, 0, v18
	v_and_or_b32 v0, 0xffe, v30, v0
	v_bfe_u32 v45, v17, 20, 11
	v_sub_nc_u32_e32 v60, 0x3f1, v34
	v_add_nc_u32_e32 v34, 0xfffffc10, v34
	v_cndmask_b32_e64 v18, 0, 1, vcc_lo
	v_cmp_ne_u32_e32 vcc_lo, 0, v20
	v_sub_nc_u32_e32 v61, 0x3f1, v37
	v_and_or_b32 v10, 0xffe, v36, v10
	v_lshrrev_b32_e32 v44, 8, v17
	v_bfe_u32 v47, v19, 20, 11
	v_cndmask_b32_e64 v20, 0, 1, vcc_lo
	v_cmp_ne_u32_e32 vcc_lo, 0, v22
	v_and_or_b32 v32, 0x1ff, v33, v32
	v_bfe_u32 v49, v21, 20, 11
	v_add_nc_u32_e32 v37, 0xfffffc10, v37
	v_sub_nc_u32_e32 v62, 0x3f1, v43
	v_cndmask_b32_e64 v22, 0, 1, vcc_lo
	v_cmp_ne_u32_e32 vcc_lo, 0, v24
	v_sub_nc_u32_e32 v63, 0x3f1, v45
	v_med3_i32 v30, v60, 0, 13
	v_med3_i32 v36, v61, 0, 13
	v_and_or_b32 v12, 0xffe, v42, v12
	v_cndmask_b32_e64 v24, 0, 1, vcc_lo
	v_cmp_ne_u32_e32 vcc_lo, 0, v26
	v_or_b32_e32 v60, 0x1000, v0
	v_lshl_or_b32 v61, v34, 12, v0
	v_lshrrev_b32_e32 v46, 8, v19
	v_lshrrev_b32_e32 v48, 8, v21
	v_cndmask_b32_e64 v26, 0, 1, vcc_lo
	v_cmp_ne_u32_e32 vcc_lo, 0, v28
	v_bfe_u32 v51, v23, 20, 11
	v_bfe_u32 v53, v25, 20, 11
	v_add_nc_u32_e32 v43, 0xfffffc10, v43
	v_sub_nc_u32_e32 v64, 0x3f1, v47
	v_cndmask_b32_e64 v28, 0, 1, vcc_lo
	v_cmp_ne_u32_e32 vcc_lo, 0, v32
	v_sub_nc_u32_e32 v65, 0x3f1, v49
	v_med3_i32 v42, v62, 0, 13
	v_and_or_b32 v16, 0xffe, v44, v16
	v_med3_i32 v44, v63, 0, 13
	v_cndmask_b32_e64 v32, 0, 1, vcc_lo
	v_cmp_ne_u32_e32 vcc_lo, 0, v0
	v_or_b32_e32 v62, 0x1000, v10
	v_lshl_or_b32 v63, v37, 12, v10
	v_lshrrev_b32_e32 v50, 8, v23
	v_lshrrev_b32_e32 v52, 8, v25
	v_cndmask_b32_e64 v0, 0, 1, vcc_lo
	v_cmp_ne_u32_e32 vcc_lo, 0, v10
	v_bfe_u32 v55, v27, 20, 11
	v_bfe_u32 v57, v29, 20, 11
	v_add_nc_u32_e32 v45, 0xfffffc10, v45
	v_sub_nc_u32_e32 v66, 0x3f1, v51
	v_cndmask_b32_e64 v10, 0, 1, vcc_lo
	v_cmp_ne_u32_e32 vcc_lo, 0, v12
	v_sub_nc_u32_e32 v67, 0x3f1, v53
	v_and_or_b32 v18, 0xffe, v46, v18
	v_med3_i32 v46, v64, 0, 13
	v_and_or_b32 v20, 0xffe, v48, v20
	v_med3_i32 v48, v65, 0, 13
	v_or_b32_e32 v64, 0x1000, v12
	v_lshl_or_b32 v65, v43, 12, v12
	v_cndmask_b32_e64 v12, 0, 1, vcc_lo
	v_cmp_ne_u32_e32 vcc_lo, 0, v16
	v_lshrrev_b32_e32 v54, 8, v27
	v_lshrrev_b32_e32 v56, 8, v29
	v_bfe_u32 v59, v33, 20, 11
	v_add_nc_u32_e32 v47, 0xfffffc10, v47
	v_sub_nc_u32_e32 v68, 0x3f1, v55
	v_sub_nc_u32_e32 v69, 0x3f1, v57
	v_and_or_b32 v22, 0xffe, v50, v22
	v_med3_i32 v50, v66, 0, 13
	v_and_or_b32 v24, 0xffe, v52, v24
	v_med3_i32 v52, v67, 0, 13
	v_or_b32_e32 v66, 0x1000, v16
	v_lshl_or_b32 v67, v45, 12, v16
	v_cndmask_b32_e64 v16, 0, 1, vcc_lo
	v_cmp_ne_u32_e32 vcc_lo, 0, v18
	v_lshrrev_b32_e32 v58, 8, v33
	v_add_nc_u32_e32 v49, 0xfffffc10, v49
	v_sub_nc_u32_e32 v70, 0x3f1, v59
	v_and_or_b32 v26, 0xffe, v54, v26
	v_med3_i32 v54, v68, 0, 13
	v_and_or_b32 v28, 0xffe, v56, v28
	v_med3_i32 v56, v69, 0, 13
	v_or_b32_e32 v68, 0x1000, v18
	v_lshl_or_b32 v69, v47, 12, v18
	v_cndmask_b32_e64 v18, 0, 1, vcc_lo
	v_cmp_ne_u32_e32 vcc_lo, 0, v20
	v_add_nc_u32_e32 v51, 0xfffffc10, v51
	v_and_or_b32 v32, 0xffe, v58, v32
	v_med3_i32 v58, v70, 0, 13
	v_or_b32_e32 v70, 0x1000, v20
	v_lshl_or_b32 v71, v49, 12, v20
	v_cndmask_b32_e64 v20, 0, 1, vcc_lo
	v_cmp_ne_u32_e32 vcc_lo, 0, v22
	v_add_nc_u32_e32 v53, 0xfffffc10, v53
	v_or_b32_e32 v72, 0x1000, v22
	v_lshl_or_b32 v73, v51, 12, v22
	v_lshrrev_b32_e32 v81, v30, v60
	v_cndmask_b32_e64 v22, 0, 1, vcc_lo
	v_cmp_ne_u32_e32 vcc_lo, 0, v24
	v_add_nc_u32_e32 v55, 0xfffffc10, v55
	v_or_b32_e32 v74, 0x1000, v24
	v_lshl_or_b32 v75, v53, 12, v24
	v_lshrrev_b32_e32 v82, v36, v62
	v_cndmask_b32_e64 v24, 0, 1, vcc_lo
	v_cmp_ne_u32_e32 vcc_lo, 0, v26
	v_lshlrev_b32_e32 v30, v30, v81
	v_or_b32_e32 v76, 0x1000, v26
	v_lshl_or_b32 v77, v55, 12, v26
	v_lshrrev_b32_e32 v83, v42, v64
	v_cndmask_b32_e64 v26, 0, 1, vcc_lo
	v_lshlrev_b32_e32 v36, v36, v82
	v_cmp_ne_u32_e32 vcc_lo, v30, v60
	v_lshrrev_b32_e32 v84, v44, v66
	v_lshlrev_b32_e32 v42, v42, v83
	v_lshrrev_b32_e32 v85, v46, v68
	v_lshrrev_b32_e32 v86, v48, v70
	v_cndmask_b32_e64 v30, 0, 1, vcc_lo
	v_cmp_ne_u32_e32 vcc_lo, v36, v62
	v_lshlrev_b32_e32 v44, v44, v84
	v_lshlrev_b32_e32 v46, v46, v85
	v_lshrrev_b32_e32 v87, v50, v72
	v_lshlrev_b32_e32 v48, v48, v86
	v_cndmask_b32_e64 v36, 0, 1, vcc_lo
	v_cmp_ne_u32_e32 vcc_lo, v42, v64
	v_lshrrev_b32_e32 v88, v52, v74
	v_lshlrev_b32_e32 v50, v50, v87
	v_or_b32_e32 v78, 0x1000, v28
	v_lshrrev_b32_e32 v89, v54, v76
	v_cndmask_b32_e64 v42, 0, 1, vcc_lo
	v_cmp_ne_u32_e32 vcc_lo, v44, v66
	v_lshlrev_b32_e32 v52, v52, v88
	v_lshrrev_b32_e32 v90, v56, v78
	v_lshlrev_b32_e32 v54, v54, v89
	v_or_b32_e32 v30, v81, v30
	v_cndmask_b32_e64 v44, 0, 1, vcc_lo
	v_cmp_ne_u32_e32 vcc_lo, v46, v68
	v_lshlrev_b32_e32 v56, v56, v90
	v_or_b32_e32 v36, v82, v36
	v_or_b32_e32 v42, v83, v42
	;; [unrolled: 1-line block ×3, first 2 shown]
	v_cndmask_b32_e64 v46, 0, 1, vcc_lo
	v_cmp_ne_u32_e32 vcc_lo, v48, v70
	v_add_nc_u32_e32 v57, 0xfffffc10, v57
	v_lshl_or_b32 v0, v0, 9, 0x7c00
	v_lshl_or_b32 v10, v10, 9, 0x7c00
	v_or_b32_e32 v46, v85, v46
	v_cndmask_b32_e64 v48, 0, 1, vcc_lo
	v_cmp_ne_u32_e32 vcc_lo, v50, v72
	v_lshl_or_b32 v79, v57, 12, v28
	v_lshl_or_b32 v12, v12, 9, 0x7c00
	;; [unrolled: 1-line block ×3, first 2 shown]
	v_or_b32_e32 v48, v86, v48
	v_cndmask_b32_e64 v50, 0, 1, vcc_lo
	v_cmp_ne_u32_e32 vcc_lo, v52, v74
	v_lshl_or_b32 v18, v18, 9, 0x7c00
	v_lshl_or_b32 v20, v20, 9, 0x7c00
	v_lshrrev_b32_e32 v11, 16, v11
	v_or_b32_e32 v50, v87, v50
	v_cndmask_b32_e64 v52, 0, 1, vcc_lo
	v_cmp_ne_u32_e32 vcc_lo, v54, v76
	v_lshrrev_b32_e32 v13, 16, v13
	v_lshl_or_b32 v22, v22, 9, 0x7c00
	v_lshrrev_b32_e32 v19, 16, v19
	v_or_b32_e32 v52, v88, v52
	v_cndmask_b32_e64 v54, 0, 1, vcc_lo
	v_cmp_ne_u32_e32 vcc_lo, v56, v78
	v_lshrrev_b32_e32 v17, 16, v17
	v_lshl_or_b32 v24, v24, 9, 0x7c00
	v_lshrrev_b32_e32 v21, 16, v21
	v_or_b32_e32 v54, v89, v54
	v_cndmask_b32_e64 v56, 0, 1, vcc_lo
	v_cmp_gt_i32_e32 vcc_lo, 1, v34
	v_lshl_or_b32 v26, v26, 9, 0x7c00
	v_or_b32_e32 v80, 0x1000, v32
	v_lshrrev_b32_e32 v23, 16, v23
	v_or_b32_e32 v56, v90, v56
	v_cndmask_b32_e32 v30, v61, v30, vcc_lo
	v_cmp_gt_i32_e32 vcc_lo, 1, v37
	v_and_or_b32 v2, 0x1ff, v3, v2
	v_lshrrev_b32_e32 v25, 16, v25
	v_and_b32_e32 v60, 7, v30
	v_cndmask_b32_e32 v36, v63, v36, vcc_lo
	v_cmp_gt_i32_e32 vcc_lo, 1, v43
	v_lshrrev_b32_e32 v30, 2, v30
	v_cmp_eq_u32_e64 s0, 3, v60
	v_and_b32_e32 v61, 7, v36
	v_cndmask_b32_e32 v42, v65, v42, vcc_lo
	v_cmp_gt_i32_e32 vcc_lo, 1, v45
	v_lshrrev_b32_e32 v36, 2, v36
	v_cmp_lt_i32_e64 s1, 5, v61
	v_and_b32_e32 v62, 7, v42
	v_cndmask_b32_e32 v44, v67, v44, vcc_lo
	v_cmp_gt_i32_e32 vcc_lo, 1, v47
	v_cmp_eq_u32_e64 s2, 3, v61
	v_lshrrev_b32_e32 v42, 2, v42
	v_cmp_lt_i32_e64 s3, 5, v62
	v_and_b32_e32 v63, 7, v44
	v_cndmask_b32_e32 v46, v69, v46, vcc_lo
	v_cmp_gt_i32_e32 vcc_lo, 1, v49
	v_cmp_eq_u32_e64 s4, 3, v62
	;; [unrolled: 6-line block ×6, first 2 shown]
	v_lshrrev_b32_e32 v52, 2, v52
	v_cmp_lt_i32_e64 s13, 5, v67
	v_and_b32_e32 v68, 7, v54
	v_cndmask_b32_e32 v56, v79, v56, vcc_lo
	v_cmp_lt_i32_e32 vcc_lo, 5, v60
	v_cmp_eq_u32_e64 s14, 3, v67
	v_lshrrev_b32_e32 v54, 2, v54
	v_cmp_lt_i32_e64 s15, 5, v68
	v_and_b32_e32 v69, 7, v56
	s_or_b32 vcc_lo, s0, vcc_lo
	v_cmp_eq_u32_e64 s16, 3, v68
	v_add_co_ci_u32_e32 v30, vcc_lo, 0, v30, vcc_lo
	s_or_b32 vcc_lo, s2, s1
	v_cmp_lt_i32_e64 s17, 5, v69
	v_add_co_ci_u32_e32 v36, vcc_lo, 0, v36, vcc_lo
	s_or_b32 vcc_lo, s4, s3
	v_cmp_eq_u32_e64 s18, 3, v69
	v_add_co_ci_u32_e32 v42, vcc_lo, 0, v42, vcc_lo
	s_or_b32 vcc_lo, s6, s5
	v_lshrrev_b32_e32 v56, 2, v56
	v_add_co_ci_u32_e32 v44, vcc_lo, 0, v44, vcc_lo
	s_or_b32 vcc_lo, s8, s7
	v_add_co_ci_u32_e32 v46, vcc_lo, 0, v46, vcc_lo
	s_or_b32 vcc_lo, s10, s9
	;; [unrolled: 2-line block ×6, first 2 shown]
	v_add_co_ci_u32_e32 v56, vcc_lo, 0, v56, vcc_lo
	v_cmp_gt_i32_e32 vcc_lo, 31, v34
	v_cndmask_b32_e32 v30, 0x7c00, v30, vcc_lo
	v_cmp_gt_i32_e32 vcc_lo, 31, v37
	v_cndmask_b32_e32 v36, 0x7c00, v36, vcc_lo
	;; [unrolled: 2-line block ×9, first 2 shown]
	v_cmp_eq_u32_e32 vcc_lo, 0x40f, v34
	v_cndmask_b32_e32 v0, v30, v0, vcc_lo
	v_cmp_eq_u32_e32 vcc_lo, 0x40f, v37
	v_and_or_b32 v0, 0x8000, v35, v0
	v_cndmask_b32_e32 v10, v36, v10, vcc_lo
	v_cmp_eq_u32_e32 vcc_lo, 0x40f, v43
	v_and_b32_e32 v0, 0xffff, v0
	v_and_or_b32 v10, 0x8000, v11, v10
	v_cndmask_b32_e32 v12, v42, v12, vcc_lo
	v_cmp_eq_u32_e32 vcc_lo, 0x40f, v45
	v_lshl_or_b32 v0, v10, 16, v0
	v_and_or_b32 v11, 0x8000, v13, v12
	v_cndmask_b32_e32 v16, v44, v16, vcc_lo
	v_cmp_eq_u32_e32 vcc_lo, 0x40f, v47
	v_and_b32_e32 v11, 0xffff, v11
	v_and_or_b32 v12, 0x8000, v17, v16
	v_cndmask_b32_e32 v18, v46, v18, vcc_lo
	v_cmp_eq_u32_e32 vcc_lo, 0x40f, v49
	v_lshl_or_b32 v10, v12, 16, v11
	v_and_or_b32 v13, 0x8000, v19, v18
	v_cndmask_b32_e32 v20, v48, v20, vcc_lo
	v_cmp_eq_u32_e32 vcc_lo, 0x40f, v51
	v_add_nc_u32_e32 v19, 0xfffffc10, v59
	v_and_b32_e32 v13, 0xffff, v13
	v_and_or_b32 v16, 0x8000, v21, v20
	v_cndmask_b32_e32 v22, v50, v22, vcc_lo
	v_cmp_eq_u32_e32 vcc_lo, 0x40f, v53
	v_lshl_or_b32 v11, v16, 16, v13
	global_store_dword v[14:15], v0, off
	global_store_dword v[38:39], v10, off
	;; [unrolled: 1-line block ×3, first 2 shown]
	v_cndmask_b32_e32 v24, v52, v24, vcc_lo
	v_cmp_eq_u32_e32 vcc_lo, 0x40f, v55
	v_lshrrev_b32_e32 v10, v58, v80
	v_lshrrev_b32_e32 v15, 16, v1
	;; [unrolled: 1-line block ×3, first 2 shown]
	v_and_or_b32 v17, 0x8000, v23, v22
	v_cndmask_b32_e32 v12, v54, v26, vcc_lo
	v_cmp_ne_u32_e32 vcc_lo, 0, v28
	v_lshlrev_b32_e32 v14, v58, v10
	v_and_or_b32 v18, 0x8000, v25, v24
	v_and_b32_e32 v17, 0xffff, v17
	v_and_or_b32 v12, 0x8000, v11, v12
	v_cndmask_b32_e64 v0, 0, 1, vcc_lo
	v_cmp_gt_i32_e32 vcc_lo, 31, v57
	v_lshrrev_b32_e32 v16, 8, v3
	v_lshl_or_b32 v18, v18, 16, v17
	v_bfe_u32 v17, v3, 20, 11
	v_lshl_or_b32 v0, v0, 9, 0x7c00
	v_cndmask_b32_e32 v13, 0x7c00, v56, vcc_lo
	v_cmp_eq_u32_e32 vcc_lo, 0x40f, v57
	global_load_dword v21, v31, s[20:21] offset:1400
	v_cndmask_b32_e32 v0, v13, v0, vcc_lo
	v_cmp_ne_u32_e32 vcc_lo, v14, v80
	s_waitcnt vmcnt(4)
	v_mul_f16_sdwa v13, v15, v9 dst_sel:DWORD dst_unused:UNUSED_PAD src0_sel:DWORD src1_sel:WORD_1
	v_lshrrev_b32_e32 v14, 16, v29
	v_cndmask_b32_e64 v11, 0, 1, vcc_lo
	v_fmac_f16_e32 v13, v1, v9
	v_cmp_ne_u32_e32 vcc_lo, 0, v2
	v_and_or_b32 v0, 0x8000, v14, v0
	v_and_b32_e32 v14, 0xffff, v12
	v_or_b32_e32 v10, v10, v11
	v_lshl_or_b32 v11, v19, 12, v32
	v_cndmask_b32_e64 v2, 0, 1, vcc_lo
	v_cvt_f32_f16_e32 v13, v13
	v_cmp_gt_i32_e32 vcc_lo, 1, v19
	v_lshl_or_b32 v25, v0, 16, v14
	v_mul_f16_sdwa v1, v1, v9 dst_sel:DWORD dst_unused:UNUSED_PAD src0_sel:DWORD src1_sel:WORD_1
	v_and_or_b32 v2, 0xffe, v16, v2
	v_cndmask_b32_e32 v20, v11, v10, vcc_lo
	v_cvt_f64_f32_e32 v[10:11], v13
	v_sub_nc_u32_e32 v13, 0x3f1, v17
	v_or_b32_e32 v22, 0x1000, v2
	v_add_co_u32 v12, vcc_lo, v40, s19
	v_and_b32_e32 v16, 7, v20
	v_med3_i32 v23, v13, 0, 13
	v_add_co_ci_u32_e32 v13, vcc_lo, s24, v41, vcc_lo
	v_lshrrev_b32_e32 v0, 2, v20
	v_cmp_lt_i32_e32 vcc_lo, 5, v16
	v_lshrrev_b32_e32 v24, v23, v22
	v_cmp_eq_u32_e64 s0, 3, v16
	v_fma_f16 v9, v9, v15, -v1
	v_lshlrev_b32_e32 v14, v23, v24
	s_or_b32 vcc_lo, s0, vcc_lo
	v_cvt_f32_f16_e32 v9, v9
	v_add_co_ci_u32_e32 v16, vcc_lo, 0, v0, vcc_lo
	v_cmp_ne_u32_e32 vcc_lo, v14, v22
	v_mul_f64 v[0:1], v[10:11], s[22:23]
	v_add_nc_u32_e32 v11, 0xfffffc10, v17
	v_cndmask_b32_e64 v10, 0, 1, vcc_lo
	v_cmp_ne_u32_e32 vcc_lo, 0, v32
	v_lshl_or_b32 v20, v11, 12, v2
	v_or_b32_e32 v17, v24, v10
	v_cndmask_b32_e64 v14, 0, 1, vcc_lo
	v_cmp_gt_i32_e32 vcc_lo, 31, v19
	v_cvt_f64_f32_e32 v[9:10], v9
	v_lshl_or_b32 v23, v14, 9, 0x7c00
	v_cndmask_b32_e32 v22, 0x7c00, v16, vcc_lo
	v_cmp_gt_i32_e32 vcc_lo, 1, v11
	ds_read2_b32 v[14:15], v5 offset0:117 offset1:152
	v_cndmask_b32_e32 v5, v20, v17, vcc_lo
	v_and_or_b32 v0, 0x1ff, v1, v0
	v_add_co_u32 v16, vcc_lo, v12, s19
	v_add_co_ci_u32_e32 v17, vcc_lo, s24, v13, vcc_lo
	v_and_b32_e32 v20, 7, v5
	v_cmp_eq_u32_e32 vcc_lo, 0x40f, v19
	v_cmp_ne_u32_e64 s1, 0, v0
	v_lshrrev_b32_e32 v5, 2, v5
	v_cmp_eq_u32_e64 s0, 3, v20
	v_cndmask_b32_e32 v19, v22, v23, vcc_lo
	v_cmp_lt_i32_e32 vcc_lo, 5, v20
	v_cndmask_b32_e64 v0, 0, 1, s1
	v_lshrrev_b32_e32 v20, 8, v1
	v_bfe_u32 v23, v1, 20, 11
	v_mul_f64 v[9:10], v[9:10], s[22:23]
	s_or_b32 vcc_lo, s0, vcc_lo
	s_waitcnt lgkmcnt(0)
	v_lshrrev_b32_e32 v24, 16, v14
	v_and_or_b32 v0, 0xffe, v20, v0
	v_sub_nc_u32_e32 v20, 0x3f1, v23
	v_add_co_ci_u32_e32 v5, vcc_lo, 0, v5, vcc_lo
	v_cmp_ne_u32_e32 vcc_lo, 0, v2
	v_or_b32_e32 v27, 0x1000, v0
	v_med3_i32 v20, v20, 0, 13
	s_waitcnt vmcnt(3)
	v_mul_f16_sdwa v26, v24, v6 dst_sel:DWORD dst_unused:UNUSED_PAD src0_sel:DWORD src1_sel:WORD_1
	v_lshrrev_b32_e32 v22, 16, v33
	v_cndmask_b32_e64 v2, 0, 1, vcc_lo
	v_cmp_gt_i32_e32 vcc_lo, 31, v11
	v_lshrrev_b32_e32 v28, v20, v27
	v_fmac_f16_e32 v26, v14, v6
	v_and_or_b32 v19, 0x8000, v22, v19
	v_lshl_or_b32 v2, v2, 9, 0x7c00
	v_cndmask_b32_e32 v5, 0x7c00, v5, vcc_lo
	v_cmp_eq_u32_e32 vcc_lo, 0x40f, v11
	v_lshlrev_b32_e32 v11, v20, v28
	v_cvt_f32_f16_e32 v22, v26
	v_and_or_b32 v9, 0x1ff, v10, v9
	v_lshrrev_b32_e32 v20, 16, v3
	v_cndmask_b32_e32 v5, v5, v2, vcc_lo
	v_cmp_ne_u32_e32 vcc_lo, v11, v27
	v_cvt_f64_f32_e32 v[2:3], v22
	global_load_dword v22, v31, s[20:21] offset:1540
	v_lshrrev_b32_e32 v26, 8, v10
	v_bfe_u32 v27, v10, 20, 11
	v_cndmask_b32_e64 v11, 0, 1, vcc_lo
	v_cmp_ne_u32_e32 vcc_lo, 0, v9
	v_add_nc_u32_e32 v23, 0xfffffc10, v23
	v_and_or_b32 v5, 0x8000, v20, v5
	v_and_b32_e32 v19, 0xffff, v19
	v_or_b32_e32 v11, v28, v11
	v_cndmask_b32_e64 v9, 0, 1, vcc_lo
	v_lshl_or_b32 v20, v23, 12, v0
	v_cmp_gt_i32_e32 vcc_lo, 1, v23
	global_store_dword v[12:13], v18, off
	global_store_dword v[16:17], v25, off
	v_lshl_or_b32 v13, v5, 16, v19
	v_and_or_b32 v9, 0xffe, v26, v9
	v_sub_nc_u32_e32 v26, 0x3f1, v27
	v_cndmask_b32_e32 v20, v20, v11, vcc_lo
	v_add_co_u32 v11, vcc_lo, v16, s19
	v_or_b32_e32 v28, 0x1000, v9
	v_med3_i32 v26, v26, 0, 13
	v_and_b32_e32 v5, 7, v20
	v_mul_f64 v[2:3], v[2:3], s[22:23]
	v_mul_f16_sdwa v14, v14, v6 dst_sel:DWORD dst_unused:UNUSED_PAD src0_sel:DWORD src1_sel:WORD_1
	v_add_co_ci_u32_e32 v12, vcc_lo, s24, v17, vcc_lo
	v_lshrrev_b32_e32 v18, v26, v28
	v_cmp_lt_i32_e32 vcc_lo, 5, v5
	v_cmp_eq_u32_e64 s0, 3, v5
	v_lshrrev_b32_e32 v5, 2, v20
	v_fma_f16 v6, v6, v24, -v14
	v_lshlrev_b32_e32 v16, v26, v18
	v_add_nc_u32_e32 v14, 0xfffffc10, v27
	s_or_b32 vcc_lo, s0, vcc_lo
	v_lshrrev_b32_e32 v25, 16, v1
	v_add_co_ci_u32_e32 v17, vcc_lo, 0, v5, vcc_lo
	v_cmp_ne_u32_e64 s1, v16, v28
	v_cvt_f32_f16_e32 v5, v6
	v_cmp_ne_u32_e32 vcc_lo, 0, v0
	v_lshrrev_b32_e32 v10, 16, v10
	global_store_dword v[11:12], v13, off
	v_cndmask_b32_e64 v16, 0, 1, s1
	v_cvt_f64_f32_e32 v[5:6], v5
	v_cndmask_b32_e64 v0, 0, 1, vcc_lo
	v_cmp_gt_i32_e32 vcc_lo, 1, v14
	v_and_or_b32 v2, 0x1ff, v3, v2
	v_or_b32_e32 v16, v18, v16
	v_lshl_or_b32 v18, v14, 12, v9
	v_lshl_or_b32 v0, v0, 9, 0x7c00
	v_lshrrev_b32_e32 v19, 8, v3
	v_bfe_u32 v20, v3, 20, 11
	v_cndmask_b32_e32 v16, v18, v16, vcc_lo
	v_cmp_gt_i32_e32 vcc_lo, 31, v23
	v_and_b32_e32 v18, 7, v16
	v_cndmask_b32_e32 v17, 0x7c00, v17, vcc_lo
	v_cmp_ne_u32_e32 vcc_lo, 0, v2
	v_lshrrev_b32_e32 v16, 2, v16
	v_cmp_eq_u32_e64 s0, 3, v18
	v_cndmask_b32_e64 v2, 0, 1, vcc_lo
	v_cmp_eq_u32_e32 vcc_lo, 0x40f, v23
	v_mul_f64 v[5:6], v[5:6], s[22:23]
	v_and_or_b32 v2, 0xffe, v19, v2
	v_cndmask_b32_e32 v17, v17, v0, vcc_lo
	v_cmp_lt_i32_e32 vcc_lo, 5, v18
	v_lshrrev_b32_e32 v18, 16, v15
	v_sub_nc_u32_e32 v0, 0x3f1, v20
	v_or_b32_e32 v19, 0x1000, v2
	v_and_or_b32 v17, 0x8000, v25, v17
	s_or_b32 vcc_lo, s0, vcc_lo
	s_waitcnt vmcnt(3)
	v_mul_f16_sdwa v23, v18, v7 dst_sel:DWORD dst_unused:UNUSED_PAD src0_sel:DWORD src1_sel:WORD_1
	v_add_co_ci_u32_e32 v16, vcc_lo, 0, v16, vcc_lo
	v_med3_i32 v0, v0, 0, 13
	v_cmp_ne_u32_e32 vcc_lo, 0, v9
	v_fmac_f16_e32 v23, v15, v7
	v_and_b32_e32 v17, 0xffff, v17
	v_lshrrev_b32_e32 v24, v0, v19
	v_cndmask_b32_e64 v9, 0, 1, vcc_lo
	v_cmp_gt_i32_e32 vcc_lo, 31, v14
	v_cvt_f32_f16_e32 v1, v23
	v_and_or_b32 v5, 0x1ff, v6, v5
	v_lshlrev_b32_e32 v23, v0, v24
	v_lshl_or_b32 v9, v9, 9, 0x7c00
	v_cndmask_b32_e32 v16, 0x7c00, v16, vcc_lo
	v_cmp_eq_u32_e32 vcc_lo, 0x40f, v14
	v_cvt_f64_f32_e32 v[0:1], v1
	v_cndmask_b32_e32 v9, v16, v9, vcc_lo
	v_cmp_ne_u32_e32 vcc_lo, v23, v19
	v_add_nc_u32_e32 v16, 0xfffffc10, v20
	v_lshrrev_b32_e32 v19, 8, v6
	v_bfe_u32 v20, v6, 20, 11
	v_and_or_b32 v9, 0x8000, v10, v9
	v_cndmask_b32_e64 v14, 0, 1, vcc_lo
	v_cmp_ne_u32_e32 vcc_lo, 0, v5
	v_lshrrev_b32_e32 v6, 16, v6
	v_lshl_or_b32 v13, v9, 16, v17
	v_or_b32_e32 v10, v24, v14
	v_lshl_or_b32 v14, v16, 12, v2
	v_cndmask_b32_e64 v5, 0, 1, vcc_lo
	v_cmp_gt_i32_e32 vcc_lo, 1, v16
	v_and_or_b32 v5, 0xffe, v19, v5
	v_cndmask_b32_e32 v14, v14, v10, vcc_lo
	v_sub_nc_u32_e32 v10, 0x3f1, v20
	v_mul_f64 v[0:1], v[0:1], s[22:23]
	v_add_co_u32 v9, vcc_lo, v11, s19
	v_or_b32_e32 v19, 0x1000, v5
	v_med3_i32 v23, v10, 0, 13
	v_and_b32_e32 v17, 7, v14
	v_add_co_ci_u32_e32 v10, vcc_lo, s24, v12, vcc_lo
	v_lshrrev_b32_e32 v12, 2, v14
	v_lshrrev_b32_e32 v24, v23, v19
	v_cmp_lt_i32_e32 vcc_lo, 5, v17
	v_cmp_eq_u32_e64 s0, 3, v17
	global_store_dword v[9:10], v13, off
	v_mul_f16_sdwa v11, v15, v7 dst_sel:DWORD dst_unused:UNUSED_PAD src0_sel:DWORD src1_sel:WORD_1
	v_lshlrev_b32_e32 v13, v23, v24
	v_add_nc_u32_e32 v17, 0xfffffc10, v20
	s_or_b32 vcc_lo, s0, vcc_lo
	v_add_co_ci_u32_e32 v14, vcc_lo, 0, v12, vcc_lo
	v_cmp_ne_u32_e32 vcc_lo, v13, v19
	v_fma_f16 v7, v7, v18, -v11
	v_and_or_b32 v0, 0x1ff, v1, v0
	ds_read2_b32 v[11:12], v4 offset0:59 offset1:94
	v_lshrrev_b32_e32 v19, 8, v1
	v_cndmask_b32_e64 v15, 0, 1, vcc_lo
	v_cmp_gt_i32_e32 vcc_lo, 31, v16
	v_cvt_f32_f16_e32 v7, v7
	v_bfe_u32 v20, v1, 20, 11
	v_cndmask_b32_e32 v18, 0x7c00, v14, vcc_lo
	v_cmp_ne_u32_e32 vcc_lo, 0, v0
	v_cvt_f64_f32_e32 v[13:14], v7
	v_or_b32_e32 v7, v24, v15
	v_lshl_or_b32 v15, v17, 12, v5
	v_cndmask_b32_e64 v0, 0, 1, vcc_lo
	v_cmp_ne_u32_e32 vcc_lo, 0, v2
	v_and_or_b32 v0, 0xffe, v19, v0
	v_cndmask_b32_e64 v2, 0, 1, vcc_lo
	v_cmp_gt_i32_e32 vcc_lo, 1, v17
	s_waitcnt lgkmcnt(0)
	v_lshrrev_b32_e32 v19, 16, v11
	v_or_b32_e32 v24, 0x1000, v0
	v_lshl_or_b32 v2, v2, 9, 0x7c00
	v_cndmask_b32_e32 v7, v15, v7, vcc_lo
	v_sub_nc_u32_e32 v15, 0x3f1, v20
	v_cmp_eq_u32_e32 vcc_lo, 0x40f, v16
	s_waitcnt vmcnt(2)
	v_mul_f16_sdwa v25, v19, v8 dst_sel:DWORD dst_unused:UNUSED_PAD src0_sel:DWORD src1_sel:WORD_1
	v_add_nc_u32_e32 v20, 0xfffffc10, v20
	v_and_b32_e32 v23, 7, v7
	v_med3_i32 v15, v15, 0, 13
	v_cndmask_b32_e32 v16, v18, v2, vcc_lo
	v_lshrrev_b32_e32 v2, 2, v7
	v_mul_f64 v[13:14], v[13:14], s[22:23]
	v_cmp_lt_i32_e32 vcc_lo, 5, v23
	v_cmp_eq_u32_e64 s0, 3, v23
	v_lshrrev_b32_e32 v18, v15, v24
	v_fmac_f16_e32 v25, v11, v8
	v_lshrrev_b32_e32 v23, 16, v3
	v_mul_f16_sdwa v11, v11, v8 dst_sel:DWORD dst_unused:UNUSED_PAD src0_sel:DWORD src1_sel:WORD_1
	s_or_b32 vcc_lo, s0, vcc_lo
	v_lshlrev_b32_e32 v7, v15, v18
	v_add_co_ci_u32_e32 v15, vcc_lo, 0, v2, vcc_lo
	v_cmp_ne_u32_e32 vcc_lo, 0, v5
	v_cvt_f32_f16_e32 v3, v25
	v_and_or_b32 v16, 0x8000, v23, v16
	v_fma_f16 v8, v8, v19, -v11
	v_lshrrev_b32_e32 v19, 16, v1
	v_cndmask_b32_e64 v5, 0, 1, vcc_lo
	v_cmp_ne_u32_e32 vcc_lo, v7, v24
	v_cvt_f64_f32_e32 v[2:3], v3
	v_and_b32_e32 v16, 0xffff, v16
	v_cvt_f32_f16_e32 v8, v8
	v_lshl_or_b32 v5, v5, 9, 0x7c00
	v_cndmask_b32_e64 v7, 0, 1, vcc_lo
	v_cmp_gt_i32_e32 vcc_lo, 31, v17
	v_and_or_b32 v13, 0x1ff, v14, v13
	v_lshrrev_b32_e32 v24, 16, v12
	v_or_b32_e32 v7, v18, v7
	v_cndmask_b32_e32 v15, 0x7c00, v15, vcc_lo
	v_cmp_eq_u32_e32 vcc_lo, 0x40f, v17
	v_lshl_or_b32 v18, v20, 12, v0
	v_bfe_u32 v17, v14, 20, 11
	v_cndmask_b32_e32 v5, v15, v5, vcc_lo
	v_cmp_gt_i32_e32 vcc_lo, 1, v20
	v_lshrrev_b32_e32 v15, 8, v14
	v_lshrrev_b32_e32 v14, 16, v14
	v_and_or_b32 v5, 0x8000, v6, v5
	v_cndmask_b32_e32 v7, v18, v7, vcc_lo
	v_cmp_ne_u32_e32 vcc_lo, 0, v13
	v_mul_f64 v[2:3], v[2:3], s[22:23]
	v_lshl_or_b32 v16, v5, 16, v16
	v_and_b32_e32 v18, 7, v7
	v_cndmask_b32_e64 v13, 0, 1, vcc_lo
	v_lshrrev_b32_e32 v7, 2, v7
	v_cmp_lt_i32_e32 vcc_lo, 5, v18
	v_and_or_b32 v13, 0xffe, v15, v13
	v_sub_nc_u32_e32 v15, 0x3f1, v17
	v_cmp_eq_u32_e64 s0, 3, v18
	v_or_b32_e32 v6, 0x1000, v13
	v_med3_i32 v15, v15, 0, 13
	s_or_b32 vcc_lo, s0, vcc_lo
	v_add_co_ci_u32_e32 v7, vcc_lo, 0, v7, vcc_lo
	v_lshrrev_b32_e32 v18, v15, v6
	v_cmp_gt_i32_e32 vcc_lo, 31, v20
	v_and_or_b32 v2, 0x1ff, v3, v2
	v_lshlrev_b32_e32 v5, v15, v18
	v_cndmask_b32_e32 v7, 0x7c00, v7, vcc_lo
	v_add_nc_u32_e32 v15, 0xfffffc10, v17
	v_bfe_u32 v17, v3, 20, 11
	v_cmp_ne_u32_e32 vcc_lo, v5, v6
	v_cvt_f64_f32_e32 v[5:6], v8
	v_lshrrev_b32_e32 v8, 8, v3
	v_cndmask_b32_e64 v11, 0, 1, vcc_lo
	v_cmp_ne_u32_e32 vcc_lo, 0, v2
	v_or_b32_e32 v11, v18, v11
	v_cndmask_b32_e64 v2, 0, 1, vcc_lo
	v_cmp_ne_u32_e32 vcc_lo, 0, v0
	v_lshl_or_b32 v18, v15, 12, v13
	v_and_or_b32 v2, 0xffe, v8, v2
	v_cndmask_b32_e64 v0, 0, 1, vcc_lo
	v_cmp_gt_i32_e32 vcc_lo, 1, v15
	v_sub_nc_u32_e32 v8, 0x3f1, v17
	v_lshl_or_b32 v0, v0, 9, 0x7c00
	v_cndmask_b32_e32 v11, v18, v11, vcc_lo
	v_cmp_eq_u32_e32 vcc_lo, 0x40f, v20
	v_or_b32_e32 v18, 0x1000, v2
	v_med3_i32 v8, v8, 0, 13
	v_and_b32_e32 v20, 7, v11
	v_cndmask_b32_e32 v7, v7, v0, vcc_lo
	v_mul_f64 v[0:1], v[5:6], s[22:23]
	v_lshrrev_b32_e32 v23, v8, v18
	v_add_co_u32 v5, vcc_lo, v9, s19
	v_add_co_ci_u32_e32 v6, vcc_lo, s24, v10, vcc_lo
	s_waitcnt vmcnt(1)
	v_mul_f16_sdwa v9, v24, v21 dst_sel:DWORD dst_unused:UNUSED_PAD src0_sel:DWORD src1_sel:WORD_1
	v_and_or_b32 v10, 0x8000, v19, v7
	v_lshlrev_b32_e32 v7, v8, v23
	v_cmp_lt_i32_e32 vcc_lo, 5, v20
	v_cmp_eq_u32_e64 s0, 3, v20
	v_fmac_f16_e32 v9, v12, v21
	v_lshrrev_b32_e32 v8, 2, v11
	v_cmp_ne_u32_e64 s1, v7, v18
	v_add_nc_u32_e32 v11, 0xfffffc10, v17
	s_or_b32 vcc_lo, s0, vcc_lo
	v_cvt_f32_f16_e32 v9, v9
	v_add_co_ci_u32_e32 v17, vcc_lo, 0, v8, vcc_lo
	v_cndmask_b32_e64 v7, 0, 1, s1
	v_cmp_ne_u32_e32 vcc_lo, 0, v13
	v_and_b32_e32 v10, 0xffff, v10
	v_and_or_b32 v0, 0x1ff, v1, v0
	v_bfe_u32 v19, v1, 20, 11
	v_or_b32_e32 v18, v23, v7
	v_cvt_f64_f32_e32 v[7:8], v9
	v_lshl_or_b32 v9, v11, 12, v2
	v_cndmask_b32_e64 v13, 0, 1, vcc_lo
	v_cmp_gt_i32_e32 vcc_lo, 1, v11
	v_mul_f16_sdwa v12, v12, v21 dst_sel:DWORD dst_unused:UNUSED_PAD src0_sel:DWORD src1_sel:WORD_1
	v_lshl_or_b32 v13, v13, 9, 0x7c00
	v_cndmask_b32_e32 v9, v9, v18, vcc_lo
	v_cmp_ne_u32_e32 vcc_lo, 0, v0
	v_lshrrev_b32_e32 v18, 8, v1
	v_fma_f16 v12, v21, v24, -v12
	v_and_b32_e32 v20, 7, v9
	v_cndmask_b32_e64 v0, 0, 1, vcc_lo
	v_cmp_gt_i32_e32 vcc_lo, 31, v15
	v_lshrrev_b32_e32 v9, 2, v9
	v_cmp_eq_u32_e64 s0, 3, v20
	v_and_or_b32 v0, 0xffe, v18, v0
	v_cndmask_b32_e32 v17, 0x7c00, v17, vcc_lo
	v_cmp_eq_u32_e32 vcc_lo, 0x40f, v15
	v_sub_nc_u32_e32 v15, 0x3f1, v19
	v_mul_f64 v[7:8], v[7:8], s[22:23]
	v_cndmask_b32_e32 v13, v17, v13, vcc_lo
	v_cmp_lt_i32_e32 vcc_lo, 5, v20
	v_or_b32_e32 v17, 0x1000, v0
	v_med3_i32 v15, v15, 0, 13
	v_and_or_b32 v13, 0x8000, v14, v13
	s_or_b32 vcc_lo, s0, vcc_lo
	v_add_co_ci_u32_e32 v9, vcc_lo, 0, v9, vcc_lo
	v_lshrrev_b32_e32 v14, v15, v17
	v_cmp_ne_u32_e32 vcc_lo, 0, v2
	v_lshl_or_b32 v18, v13, 16, v10
	v_lshlrev_b32_e32 v13, v15, v14
	v_cndmask_b32_e64 v2, 0, 1, vcc_lo
	v_cmp_gt_i32_e32 vcc_lo, 31, v11
	v_and_or_b32 v7, 0x1ff, v8, v7
	v_lshl_or_b32 v2, v2, 9, 0x7c00
	v_cndmask_b32_e32 v15, 0x7c00, v9, vcc_lo
	v_cmp_ne_u32_e32 vcc_lo, v13, v17
	ds_read2_b32 v[9:10], v4 offset0:129 offset1:164
	v_add_nc_u32_e32 v17, 0xfffffc10, v19
	v_cndmask_b32_e64 v4, 0, 1, vcc_lo
	v_cmp_eq_u32_e32 vcc_lo, 0x40f, v11
	v_cvt_f32_f16_e32 v11, v12
	v_cndmask_b32_e32 v13, v15, v2, vcc_lo
	v_cmp_ne_u32_e32 vcc_lo, 0, v7
	v_or_b32_e32 v2, v14, v4
	v_lshl_or_b32 v4, v17, 12, v0
	v_lshrrev_b32_e32 v14, 8, v8
	v_bfe_u32 v15, v8, 20, 11
	v_cndmask_b32_e64 v7, 0, 1, vcc_lo
	v_cmp_gt_i32_e32 vcc_lo, 1, v17
	v_cvt_f64_f32_e32 v[11:12], v11
	v_lshrrev_b32_e32 v8, 16, v8
	s_waitcnt lgkmcnt(0)
	v_lshrrev_b32_e32 v19, 16, v9
	v_and_or_b32 v7, 0xffe, v14, v7
	v_cndmask_b32_e32 v4, v4, v2, vcc_lo
	v_sub_nc_u32_e32 v2, 0x3f1, v15
	v_lshrrev_b32_e32 v14, 16, v3
	s_waitcnt vmcnt(0)
	v_mul_f16_sdwa v24, v19, v22 dst_sel:DWORD dst_unused:UNUSED_PAD src0_sel:DWORD src1_sel:WORD_1
	v_or_b32_e32 v21, 0x1000, v7
	v_and_b32_e32 v20, 7, v4
	v_med3_i32 v23, v2, 0, 13
	v_add_co_u32 v2, vcc_lo, v5, s19
	v_add_co_ci_u32_e32 v3, vcc_lo, s24, v6, vcc_lo
	v_lshrrev_b32_e32 v26, v23, v21
	v_fmac_f16_e32 v24, v9, v22
	v_cmp_lt_i32_e32 vcc_lo, 5, v20
	v_cmp_eq_u32_e64 s0, 3, v20
	v_lshrrev_b32_e32 v4, 2, v4
	v_lshlrev_b32_e32 v20, v23, v26
	v_and_or_b32 v25, 0x8000, v14, v13
	v_cvt_f32_f16_e32 v13, v24
	s_or_b32 vcc_lo, s0, vcc_lo
	v_mul_f64 v[11:12], v[11:12], s[22:23]
	v_add_co_ci_u32_e32 v4, vcc_lo, 0, v4, vcc_lo
	v_cmp_ne_u32_e32 vcc_lo, v20, v21
	v_cvt_f64_f32_e32 v[13:14], v13
	v_add_nc_u32_e32 v15, 0xfffffc10, v15
	v_mul_f16_sdwa v9, v9, v22 dst_sel:DWORD dst_unused:UNUSED_PAD src0_sel:DWORD src1_sel:WORD_1
	v_cndmask_b32_e64 v20, 0, 1, vcc_lo
	v_cmp_ne_u32_e32 vcc_lo, 0, v0
	v_lshl_or_b32 v21, v15, 12, v7
	v_fma_f16 v9, v22, v19, -v9
	v_or_b32_e32 v20, v26, v20
	v_cndmask_b32_e64 v0, 0, 1, vcc_lo
	v_cmp_gt_i32_e32 vcc_lo, 31, v17
	v_cvt_f32_f16_e32 v9, v9
	v_lshl_or_b32 v0, v0, 9, 0x7c00
	v_cndmask_b32_e32 v4, 0x7c00, v4, vcc_lo
	v_cmp_gt_i32_e32 vcc_lo, 1, v15
	v_and_or_b32 v11, 0x1ff, v12, v11
	v_cndmask_b32_e32 v19, v21, v20, vcc_lo
	v_cmp_eq_u32_e32 vcc_lo, 0x40f, v17
	v_mul_f64 v[13:14], v[13:14], s[22:23]
	v_lshrrev_b32_e32 v17, 16, v1
	v_lshrrev_b32_e32 v20, 8, v12
	v_bfe_u32 v21, v12, 20, 11
	v_cndmask_b32_e32 v4, v4, v0, vcc_lo
	v_cvt_f64_f32_e32 v[0:1], v9
	v_cmp_ne_u32_e32 vcc_lo, 0, v11
	v_and_b32_e32 v9, 7, v19
	v_lshrrev_b32_e32 v12, 16, v12
	v_and_or_b32 v4, 0x8000, v17, v4
	v_and_b32_e32 v17, 0xffff, v25
	v_cndmask_b32_e64 v11, 0, 1, vcc_lo
	v_cmp_lt_i32_e32 vcc_lo, 5, v9
	v_cmp_eq_u32_e64 s0, 3, v9
	v_lshrrev_b32_e32 v9, 2, v19
	v_lshl_or_b32 v4, v4, 16, v17
	v_and_or_b32 v11, 0xffe, v20, v11
	v_sub_nc_u32_e32 v20, 0x3f1, v21
	s_or_b32 vcc_lo, s0, vcc_lo
	v_add_co_ci_u32_e32 v9, vcc_lo, 0, v9, vcc_lo
	v_or_b32_e32 v17, 0x1000, v11
	v_med3_i32 v19, v20, 0, 13
	v_cmp_ne_u32_e32 vcc_lo, 0, v7
	v_and_or_b32 v13, 0x1ff, v14, v13
	v_lshrrev_b32_e32 v22, 8, v14
	v_mul_f64 v[0:1], v[0:1], s[22:23]
	v_lshrrev_b32_e32 v20, v19, v17
	v_cndmask_b32_e64 v7, 0, 1, vcc_lo
	v_cmp_gt_i32_e32 vcc_lo, 31, v15
	v_bfe_u32 v23, v14, 20, 11
	v_lshlrev_b32_e32 v19, v19, v20
	v_lshl_or_b32 v7, v7, 9, 0x7c00
	v_cndmask_b32_e32 v9, 0x7c00, v9, vcc_lo
	v_cmp_ne_u32_e32 vcc_lo, 0, v13
	v_cndmask_b32_e64 v13, 0, 1, vcc_lo
	v_cmp_ne_u32_e32 vcc_lo, v19, v17
	v_add_nc_u32_e32 v19, 0xfffffc10, v21
	v_sub_nc_u32_e32 v21, 0x3f1, v23
	v_and_or_b32 v13, 0xffe, v22, v13
	v_cndmask_b32_e64 v17, 0, 1, vcc_lo
	v_cmp_eq_u32_e32 vcc_lo, 0x40f, v15
	v_lshl_or_b32 v15, v19, 12, v11
	v_and_or_b32 v0, 0x1ff, v1, v0
	v_bfe_u32 v22, v1, 20, 11
	v_cndmask_b32_e32 v7, v9, v7, vcc_lo
	v_or_b32_e32 v9, v20, v17
	v_or_b32_e32 v17, 0x1000, v13
	v_med3_i32 v20, v21, 0, 13
	v_cmp_gt_i32_e32 vcc_lo, 1, v19
	v_lshrrev_b32_e32 v21, 8, v1
	v_and_or_b32 v7, 0x8000, v8, v7
	v_sub_nc_u32_e32 v8, 0x3f1, v22
	v_cndmask_b32_e32 v9, v15, v9, vcc_lo
	v_lshrrev_b32_e32 v15, v20, v17
	v_cmp_ne_u32_e32 vcc_lo, 0, v0
	v_med3_i32 v8, v8, 0, 13
	v_and_b32_e32 v7, 0xffff, v7
	v_and_b32_e32 v24, 7, v9
	v_lshlrev_b32_e32 v20, v20, v15
	v_cndmask_b32_e64 v0, 0, 1, vcc_lo
	v_lshrrev_b32_e32 v9, 2, v9
	v_cmp_lt_i32_e32 vcc_lo, 5, v24
	v_cmp_ne_u32_e64 s0, v20, v17
	v_and_or_b32 v0, 0xffe, v21, v0
	v_add_nc_u32_e32 v21, 0xfffffc10, v23
	v_cndmask_b32_e64 v17, 0, 1, s0
	v_cmp_eq_u32_e64 s0, 3, v24
	v_or_b32_e32 v20, 0x1000, v0
	v_lshl_or_b32 v23, v21, 12, v13
	v_or_b32_e32 v15, v15, v17
	s_or_b32 vcc_lo, s0, vcc_lo
	v_lshrrev_b32_e32 v17, v8, v20
	v_add_co_ci_u32_e32 v9, vcc_lo, 0, v9, vcc_lo
	v_cmp_gt_i32_e32 vcc_lo, 1, v21
	v_lshlrev_b32_e32 v8, v8, v17
	v_cndmask_b32_e32 v15, v23, v15, vcc_lo
	v_cmp_ne_u32_e32 vcc_lo, 0, v11
	v_cndmask_b32_e64 v11, 0, 1, vcc_lo
	v_cmp_ne_u32_e32 vcc_lo, v8, v20
	v_add_nc_u32_e32 v20, 0xfffffc10, v22
	v_and_b32_e32 v22, 7, v15
	v_lshl_or_b32 v11, v11, 9, 0x7c00
	v_cndmask_b32_e64 v8, 0, 1, vcc_lo
	v_cmp_gt_i32_e32 vcc_lo, 31, v19
	v_cmp_gt_i32_e64 s1, 1, v20
	v_cmp_eq_u32_e64 s0, 3, v22
	v_or_b32_e32 v8, v17, v8
	v_lshl_or_b32 v17, v20, 12, v0
	v_cndmask_b32_e32 v9, 0x7c00, v9, vcc_lo
	v_cmp_lt_i32_e32 vcc_lo, 5, v22
	v_cndmask_b32_e64 v8, v17, v8, s1
	v_cmp_eq_u32_e64 s1, 0x40f, v19
	s_or_b32 vcc_lo, s0, vcc_lo
	v_cndmask_b32_e64 v9, v9, v11, s1
	v_lshrrev_b32_e32 v11, 2, v15
	v_and_b32_e32 v15, 7, v8
	v_lshrrev_b32_e32 v8, 2, v8
	v_cmp_gt_i32_e64 s1, 31, v21
	v_and_or_b32 v9, 0x8000, v12, v9
	v_add_co_ci_u32_e32 v11, vcc_lo, 0, v11, vcc_lo
	v_cmp_ne_u32_e32 vcc_lo, 0, v13
	v_cmp_eq_u32_e64 s0, 3, v15
	v_lshrrev_b32_e32 v12, 16, v1
	v_cndmask_b32_e64 v11, 0x7c00, v11, s1
	v_lshl_or_b32 v9, v9, 16, v7
	v_cndmask_b32_e64 v13, 0, 1, vcc_lo
	v_cmp_lt_i32_e32 vcc_lo, 5, v15
	v_lshl_or_b32 v13, v13, 9, 0x7c00
	s_or_b32 vcc_lo, s0, vcc_lo
	v_add_co_ci_u32_e32 v8, vcc_lo, 0, v8, vcc_lo
	v_cmp_ne_u32_e32 vcc_lo, 0, v0
	v_cndmask_b32_e64 v0, 0, 1, vcc_lo
	v_cmp_eq_u32_e32 vcc_lo, 0x40f, v21
	v_lshl_or_b32 v0, v0, 9, 0x7c00
	v_cndmask_b32_e32 v11, v11, v13, vcc_lo
	v_cmp_gt_i32_e32 vcc_lo, 31, v20
	v_lshrrev_b32_e32 v13, 16, v14
	v_cndmask_b32_e32 v8, 0x7c00, v8, vcc_lo
	v_cmp_eq_u32_e32 vcc_lo, 0x40f, v20
	v_and_or_b32 v11, 0x8000, v13, v11
	v_cndmask_b32_e32 v8, v8, v0, vcc_lo
	v_add_co_u32 v0, vcc_lo, v2, s19
	v_add_co_ci_u32_e32 v1, vcc_lo, s24, v3, vcc_lo
	v_and_or_b32 v12, 0x8000, v12, v8
	v_and_b32_e32 v11, 0xffff, v11
	v_add_co_u32 v7, vcc_lo, v0, s19
	v_add_co_ci_u32_e32 v8, vcc_lo, s24, v1, vcc_lo
	v_lshl_or_b32 v13, v12, 16, v11
	v_add_co_u32 v11, vcc_lo, v7, s19
	v_add_co_ci_u32_e32 v12, vcc_lo, s24, v8, vcc_lo
	global_store_dword v[5:6], v16, off
	global_store_dword v[2:3], v18, off
	;; [unrolled: 1-line block ×5, first 2 shown]
	global_load_dword v0, v31, s[20:21] offset:1680
	v_lshrrev_b32_e32 v1, 16, v10
	s_waitcnt vmcnt(0)
	v_mul_f16_sdwa v2, v1, v0 dst_sel:DWORD dst_unused:UNUSED_PAD src0_sel:DWORD src1_sel:WORD_1
	v_mul_f16_sdwa v3, v10, v0 dst_sel:DWORD dst_unused:UNUSED_PAD src0_sel:DWORD src1_sel:WORD_1
	v_fmac_f16_e32 v2, v10, v0
	v_fma_f16 v0, v0, v1, -v3
	v_cvt_f32_f16_e32 v1, v2
	v_cvt_f32_f16_e32 v2, v0
	v_cvt_f64_f32_e32 v[0:1], v1
	v_cvt_f64_f32_e32 v[2:3], v2
	v_mul_f64 v[0:1], v[0:1], s[22:23]
	v_mul_f64 v[2:3], v[2:3], s[22:23]
	v_and_or_b32 v0, 0x1ff, v1, v0
	v_and_or_b32 v2, 0x1ff, v3, v2
	v_lshrrev_b32_e32 v4, 8, v1
	v_bfe_u32 v5, v1, 20, 11
	v_lshrrev_b32_e32 v6, 8, v3
	v_cmp_ne_u32_e32 vcc_lo, 0, v0
	v_bfe_u32 v7, v3, 20, 11
	v_lshrrev_b32_e32 v1, 16, v1
	v_lshrrev_b32_e32 v3, 16, v3
	v_cndmask_b32_e64 v0, 0, 1, vcc_lo
	v_cmp_ne_u32_e32 vcc_lo, 0, v2
	v_and_or_b32 v0, 0xffe, v4, v0
	v_cndmask_b32_e64 v2, 0, 1, vcc_lo
	v_sub_nc_u32_e32 v4, 0x3f1, v5
	v_add_nc_u32_e32 v5, 0xfffffc10, v5
	v_or_b32_e32 v8, 0x1000, v0
	v_and_or_b32 v2, 0xffe, v6, v2
	v_sub_nc_u32_e32 v6, 0x3f1, v7
	v_med3_i32 v4, v4, 0, 13
	v_add_nc_u32_e32 v7, 0xfffffc10, v7
	v_or_b32_e32 v9, 0x1000, v2
	v_med3_i32 v6, v6, 0, 13
	v_lshrrev_b32_e32 v10, v4, v8
	v_lshrrev_b32_e32 v13, v6, v9
	v_lshlrev_b32_e32 v4, v4, v10
	v_lshlrev_b32_e32 v6, v6, v13
	v_cmp_ne_u32_e32 vcc_lo, v4, v8
	v_lshl_or_b32 v8, v5, 12, v0
	v_cndmask_b32_e64 v4, 0, 1, vcc_lo
	v_cmp_ne_u32_e32 vcc_lo, v6, v9
	v_lshl_or_b32 v9, v7, 12, v2
	v_or_b32_e32 v4, v10, v4
	v_cndmask_b32_e64 v6, 0, 1, vcc_lo
	v_cmp_gt_i32_e32 vcc_lo, 1, v5
	v_or_b32_e32 v6, v13, v6
	v_cndmask_b32_e32 v4, v8, v4, vcc_lo
	v_cmp_gt_i32_e32 vcc_lo, 1, v7
	v_and_b32_e32 v8, 7, v4
	v_cndmask_b32_e32 v6, v9, v6, vcc_lo
	v_lshrrev_b32_e32 v4, 2, v4
	v_cmp_lt_i32_e32 vcc_lo, 5, v8
	v_cmp_eq_u32_e64 s0, 3, v8
	v_and_b32_e32 v9, 7, v6
	v_lshrrev_b32_e32 v6, 2, v6
	s_or_b32 vcc_lo, s0, vcc_lo
	v_cmp_lt_i32_e64 s1, 5, v9
	v_add_co_ci_u32_e32 v4, vcc_lo, 0, v4, vcc_lo
	v_cmp_eq_u32_e64 s2, 3, v9
	v_cmp_ne_u32_e32 vcc_lo, 0, v0
	v_cndmask_b32_e64 v0, 0, 1, vcc_lo
	s_or_b32 vcc_lo, s2, s1
	v_add_co_ci_u32_e32 v6, vcc_lo, 0, v6, vcc_lo
	v_cmp_ne_u32_e32 vcc_lo, 0, v2
	v_lshl_or_b32 v0, v0, 9, 0x7c00
	v_cndmask_b32_e64 v2, 0, 1, vcc_lo
	v_cmp_gt_i32_e32 vcc_lo, 31, v5
	v_lshl_or_b32 v2, v2, 9, 0x7c00
	v_cndmask_b32_e32 v4, 0x7c00, v4, vcc_lo
	v_cmp_gt_i32_e32 vcc_lo, 31, v7
	v_cndmask_b32_e32 v6, 0x7c00, v6, vcc_lo
	v_cmp_eq_u32_e32 vcc_lo, 0x40f, v5
	v_cndmask_b32_e32 v0, v4, v0, vcc_lo
	v_cmp_eq_u32_e32 vcc_lo, 0x40f, v7
	v_and_or_b32 v0, 0x8000, v1, v0
	v_cndmask_b32_e32 v2, v6, v2, vcc_lo
	v_and_b32_e32 v0, 0xffff, v0
	v_and_or_b32 v1, 0x8000, v3, v2
	v_lshl_or_b32 v2, v1, 16, v0
	v_add_co_u32 v0, vcc_lo, v11, s19
	v_add_co_ci_u32_e32 v1, vcc_lo, s24, v12, vcc_lo
	global_store_dword v[0:1], v2, off
.LBB0_23:
	s_endpgm
	.section	.rodata,"a",@progbits
	.p2align	6, 0x0
	.amdhsa_kernel bluestein_single_fwd_len455_dim1_half_op_CI_CI
		.amdhsa_group_segment_fixed_size 5460
		.amdhsa_private_segment_fixed_size 0
		.amdhsa_kernarg_size 104
		.amdhsa_user_sgpr_count 6
		.amdhsa_user_sgpr_private_segment_buffer 1
		.amdhsa_user_sgpr_dispatch_ptr 0
		.amdhsa_user_sgpr_queue_ptr 0
		.amdhsa_user_sgpr_kernarg_segment_ptr 1
		.amdhsa_user_sgpr_dispatch_id 0
		.amdhsa_user_sgpr_flat_scratch_init 0
		.amdhsa_user_sgpr_private_segment_size 0
		.amdhsa_wavefront_size32 1
		.amdhsa_uses_dynamic_stack 0
		.amdhsa_system_sgpr_private_segment_wavefront_offset 0
		.amdhsa_system_sgpr_workgroup_id_x 1
		.amdhsa_system_sgpr_workgroup_id_y 0
		.amdhsa_system_sgpr_workgroup_id_z 0
		.amdhsa_system_sgpr_workgroup_info 0
		.amdhsa_system_vgpr_workitem_id 0
		.amdhsa_next_free_vgpr 117
		.amdhsa_next_free_sgpr 25
		.amdhsa_reserve_vcc 1
		.amdhsa_reserve_flat_scratch 0
		.amdhsa_float_round_mode_32 0
		.amdhsa_float_round_mode_16_64 0
		.amdhsa_float_denorm_mode_32 3
		.amdhsa_float_denorm_mode_16_64 3
		.amdhsa_dx10_clamp 1
		.amdhsa_ieee_mode 1
		.amdhsa_fp16_overflow 0
		.amdhsa_workgroup_processor_mode 1
		.amdhsa_memory_ordered 1
		.amdhsa_forward_progress 0
		.amdhsa_shared_vgpr_count 0
		.amdhsa_exception_fp_ieee_invalid_op 0
		.amdhsa_exception_fp_denorm_src 0
		.amdhsa_exception_fp_ieee_div_zero 0
		.amdhsa_exception_fp_ieee_overflow 0
		.amdhsa_exception_fp_ieee_underflow 0
		.amdhsa_exception_fp_ieee_inexact 0
		.amdhsa_exception_int_div_zero 0
	.end_amdhsa_kernel
	.text
.Lfunc_end0:
	.size	bluestein_single_fwd_len455_dim1_half_op_CI_CI, .Lfunc_end0-bluestein_single_fwd_len455_dim1_half_op_CI_CI
                                        ; -- End function
	.section	.AMDGPU.csdata,"",@progbits
; Kernel info:
; codeLenInByte = 20716
; NumSgprs: 27
; NumVgprs: 117
; ScratchSize: 0
; MemoryBound: 0
; FloatMode: 240
; IeeeMode: 1
; LDSByteSize: 5460 bytes/workgroup (compile time only)
; SGPRBlocks: 3
; VGPRBlocks: 14
; NumSGPRsForWavesPerEU: 27
; NumVGPRsForWavesPerEU: 117
; Occupancy: 8
; WaveLimiterHint : 1
; COMPUTE_PGM_RSRC2:SCRATCH_EN: 0
; COMPUTE_PGM_RSRC2:USER_SGPR: 6
; COMPUTE_PGM_RSRC2:TRAP_HANDLER: 0
; COMPUTE_PGM_RSRC2:TGID_X_EN: 1
; COMPUTE_PGM_RSRC2:TGID_Y_EN: 0
; COMPUTE_PGM_RSRC2:TGID_Z_EN: 0
; COMPUTE_PGM_RSRC2:TIDIG_COMP_CNT: 0
	.text
	.p2alignl 6, 3214868480
	.fill 48, 4, 3214868480
	.type	__hip_cuid_d2c3a54191656c87,@object ; @__hip_cuid_d2c3a54191656c87
	.section	.bss,"aw",@nobits
	.globl	__hip_cuid_d2c3a54191656c87
__hip_cuid_d2c3a54191656c87:
	.byte	0                               ; 0x0
	.size	__hip_cuid_d2c3a54191656c87, 1

	.ident	"AMD clang version 19.0.0git (https://github.com/RadeonOpenCompute/llvm-project roc-6.4.0 25133 c7fe45cf4b819c5991fe208aaa96edf142730f1d)"
	.section	".note.GNU-stack","",@progbits
	.addrsig
	.addrsig_sym __hip_cuid_d2c3a54191656c87
	.amdgpu_metadata
---
amdhsa.kernels:
  - .args:
      - .actual_access:  read_only
        .address_space:  global
        .offset:         0
        .size:           8
        .value_kind:     global_buffer
      - .actual_access:  read_only
        .address_space:  global
        .offset:         8
        .size:           8
        .value_kind:     global_buffer
      - .actual_access:  read_only
        .address_space:  global
        .offset:         16
        .size:           8
        .value_kind:     global_buffer
      - .actual_access:  read_only
        .address_space:  global
        .offset:         24
        .size:           8
        .value_kind:     global_buffer
      - .actual_access:  read_only
        .address_space:  global
        .offset:         32
        .size:           8
        .value_kind:     global_buffer
      - .offset:         40
        .size:           8
        .value_kind:     by_value
      - .address_space:  global
        .offset:         48
        .size:           8
        .value_kind:     global_buffer
      - .address_space:  global
        .offset:         56
        .size:           8
        .value_kind:     global_buffer
      - .address_space:  global
        .offset:         64
        .size:           8
        .value_kind:     global_buffer
      - .address_space:  global
        .offset:         72
        .size:           8
        .value_kind:     global_buffer
      - .offset:         80
        .size:           4
        .value_kind:     by_value
      - .address_space:  global
        .offset:         88
        .size:           8
        .value_kind:     global_buffer
      - .address_space:  global
        .offset:         96
        .size:           8
        .value_kind:     global_buffer
    .group_segment_fixed_size: 5460
    .kernarg_segment_align: 8
    .kernarg_segment_size: 104
    .language:       OpenCL C
    .language_version:
      - 2
      - 0
    .max_flat_workgroup_size: 195
    .name:           bluestein_single_fwd_len455_dim1_half_op_CI_CI
    .private_segment_fixed_size: 0
    .sgpr_count:     27
    .sgpr_spill_count: 0
    .symbol:         bluestein_single_fwd_len455_dim1_half_op_CI_CI.kd
    .uniform_work_group_size: 1
    .uses_dynamic_stack: false
    .vgpr_count:     117
    .vgpr_spill_count: 0
    .wavefront_size: 32
    .workgroup_processor_mode: 1
amdhsa.target:   amdgcn-amd-amdhsa--gfx1030
amdhsa.version:
  - 1
  - 2
...

	.end_amdgpu_metadata
